;; amdgpu-corpus repo=ROCm/rocFFT kind=compiled arch=gfx1030 opt=O3
	.text
	.amdgcn_target "amdgcn-amd-amdhsa--gfx1030"
	.amdhsa_code_object_version 6
	.protected	bluestein_single_fwd_len1782_dim1_half_op_CI_CI ; -- Begin function bluestein_single_fwd_len1782_dim1_half_op_CI_CI
	.globl	bluestein_single_fwd_len1782_dim1_half_op_CI_CI
	.p2align	8
	.type	bluestein_single_fwd_len1782_dim1_half_op_CI_CI,@function
bluestein_single_fwd_len1782_dim1_half_op_CI_CI: ; @bluestein_single_fwd_len1782_dim1_half_op_CI_CI
; %bb.0:
	s_load_dwordx4 s[12:15], s[4:5], 0x28
	v_mul_u32_u24_e32 v1, 0x296, v0
	v_mov_b32_e32 v9, 0
	s_mov_b32 s0, exec_lo
	v_lshrrev_b32_e32 v1, 16, v1
	v_add_nc_u32_e32 v8, s6, v1
	s_waitcnt lgkmcnt(0)
	v_cmpx_gt_u64_e64 s[12:13], v[8:9]
	s_cbranch_execz .LBB0_15
; %bb.1:
	s_clause 0x1
	s_load_dwordx4 s[8:11], s[4:5], 0x18
	s_load_dwordx2 s[6:7], s[4:5], 0x0
	v_mul_lo_u16 v1, 0x63, v1
	v_sub_nc_u16 v15, v0, v1
	v_and_b32_e32 v79, 0xffff, v15
	v_lshlrev_b32_e32 v69, 2, v79
	s_waitcnt lgkmcnt(0)
	s_load_dwordx4 s[0:3], s[8:9], 0x0
	s_clause 0x3
	global_load_dword v81, v69, s[6:7]
	global_load_dword v80, v69, s[6:7] offset:648
	global_load_dword v78, v69, s[6:7] offset:1296
	;; [unrolled: 1-line block ×3, first 2 shown]
	s_waitcnt lgkmcnt(0)
	v_mad_u64_u32 v[0:1], null, s2, v8, 0
	v_mad_u64_u32 v[2:3], null, s0, v79, 0
	s_mul_hi_u32 s8, s0, 0xa2
	v_mad_u64_u32 v[4:5], null, s3, v8, v[1:2]
	s_mul_i32 s3, s1, 0xa2
	s_add_i32 s3, s8, s3
	v_mad_u64_u32 v[5:6], null, s1, v79, v[3:4]
	v_mov_b32_e32 v1, v4
	v_add_co_u32 v6, s2, s6, v69
	v_add_co_ci_u32_e64 v7, null, s7, 0, s2
	v_lshlrev_b64 v[0:1], 2, v[0:1]
	v_mov_b32_e32 v3, v5
	s_mul_i32 s2, s0, 0xa2
	s_lshl_b64 s[2:3], s[2:3], 2
	v_lshlrev_b64 v[2:3], 2, v[2:3]
	v_add_co_u32 v0, vcc_lo, s14, v0
	v_add_co_ci_u32_e32 v1, vcc_lo, s15, v1, vcc_lo
	v_add_co_u32 v0, vcc_lo, v0, v2
	v_add_co_ci_u32_e32 v1, vcc_lo, v1, v3, vcc_lo
	;; [unrolled: 2-line block ×3, first 2 shown]
	s_clause 0x1
	global_load_dword v13, v[0:1], off
	global_load_dword v14, v[2:3], off
	v_add_co_u32 v9, vcc_lo, v2, s2
	v_add_co_ci_u32_e32 v10, vcc_lo, s3, v3, vcc_lo
	v_add_co_u32 v0, vcc_lo, v9, s2
	v_add_co_ci_u32_e32 v1, vcc_lo, s3, v10, vcc_lo
	;; [unrolled: 2-line block ×3, first 2 shown]
	v_add_co_u32 v11, vcc_lo, v0, s2
	s_clause 0x1
	global_load_dword v16, v[9:10], off
	global_load_dword v17, v[0:1], off
	v_add_co_ci_u32_e32 v12, vcc_lo, s3, v1, vcc_lo
	v_add_co_u32 v0, vcc_lo, v11, s2
	v_add_co_ci_u32_e32 v1, vcc_lo, s3, v12, vcc_lo
	v_add_co_u32 v2, vcc_lo, 0x1000, v6
	v_add_co_ci_u32_e32 v3, vcc_lo, 0, v7, vcc_lo
	global_load_dword v76, v[4:5], off offset:544
	global_load_dword v18, v[11:12], off
	global_load_dword v19, v[0:1], off
	v_add_co_u32 v0, vcc_lo, v0, s2
	v_add_co_ci_u32_e32 v1, vcc_lo, s3, v1, vcc_lo
	s_clause 0x3
	global_load_dword v75, v[4:5], off offset:1192
	global_load_dword v74, v[4:5], off offset:1840
	global_load_dword v73, v[2:3], off offset:440
	global_load_dword v72, v[2:3], off offset:1088
	v_add_co_u32 v9, vcc_lo, v0, s2
	v_add_co_ci_u32_e32 v10, vcc_lo, s3, v1, vcc_lo
	global_load_dword v20, v[0:1], off
	v_add_co_u32 v0, vcc_lo, v9, s2
	v_add_co_ci_u32_e32 v1, vcc_lo, s3, v10, vcc_lo
	global_load_dword v21, v[9:10], off
	;; [unrolled: 3-line block ×3, first 2 shown]
	v_add_co_u32 v9, vcc_lo, v11, s2
	v_add_co_ci_u32_e32 v10, vcc_lo, s3, v12, vcc_lo
	v_add_co_u32 v0, vcc_lo, 0x1800, v6
	v_add_co_ci_u32_e32 v1, vcc_lo, 0, v7, vcc_lo
	global_load_dword v23, v[11:12], off
	global_load_dword v24, v[9:10], off
	s_clause 0x1
	global_load_dword v71, v[2:3], off offset:1736
	global_load_dword v70, v[0:1], off offset:336
	s_load_dwordx2 s[6:7], s[4:5], 0x38
	s_load_dwordx4 s[8:11], s[10:11], 0x0
	v_add_nc_u32_e32 v11, 0x400, v69
	v_add_nc_u32_e32 v12, 0xa00, v69
	v_cmp_gt_u16_e32 vcc_lo, 63, v15
	s_waitcnt vmcnt(17)
	v_lshrrev_b32_e32 v25, 16, v13
	v_mul_f16_sdwa v26, v81, v13 dst_sel:DWORD dst_unused:UNUSED_PAD src0_sel:WORD_1 src1_sel:DWORD
	s_waitcnt vmcnt(16)
	v_lshrrev_b32_e32 v28, 16, v14
	v_mul_f16_sdwa v29, v80, v14 dst_sel:DWORD dst_unused:UNUSED_PAD src0_sel:WORD_1 src1_sel:DWORD
	v_mul_f16_sdwa v27, v81, v25 dst_sel:DWORD dst_unused:UNUSED_PAD src0_sel:WORD_1 src1_sel:DWORD
	v_fma_f16 v25, v81, v25, -v26
	v_fmac_f16_e32 v27, v81, v13
	v_mul_f16_sdwa v13, v80, v28 dst_sel:DWORD dst_unused:UNUSED_PAD src0_sel:WORD_1 src1_sel:DWORD
	v_fma_f16 v28, v80, v28, -v29
	v_pack_b32_f16 v25, v27, v25
	s_waitcnt vmcnt(15)
	v_lshrrev_b32_e32 v26, 16, v16
	v_mul_f16_sdwa v29, v78, v16 dst_sel:DWORD dst_unused:UNUSED_PAD src0_sel:WORD_1 src1_sel:DWORD
	v_fmac_f16_e32 v13, v80, v14
	s_waitcnt vmcnt(14)
	v_lshrrev_b32_e32 v27, 16, v17
	v_mul_f16_sdwa v30, v77, v17 dst_sel:DWORD dst_unused:UNUSED_PAD src0_sel:WORD_1 src1_sel:DWORD
	v_mul_f16_sdwa v14, v78, v26 dst_sel:DWORD dst_unused:UNUSED_PAD src0_sel:WORD_1 src1_sel:DWORD
	v_fma_f16 v26, v78, v26, -v29
	v_pack_b32_f16 v13, v13, v28
	v_fmac_f16_e32 v14, v78, v16
	v_mul_f16_sdwa v16, v77, v27 dst_sel:DWORD dst_unused:UNUSED_PAD src0_sel:WORD_1 src1_sel:DWORD
	s_waitcnt vmcnt(12)
	v_lshrrev_b32_e32 v28, 16, v18
	v_fma_f16 v27, v77, v27, -v30
	v_mul_f16_sdwa v29, v76, v18 dst_sel:DWORD dst_unused:UNUSED_PAD src0_sel:WORD_1 src1_sel:DWORD
	ds_write2_b32 v69, v25, v13 offset1:162
	v_pack_b32_f16 v13, v14, v26
	v_fmac_f16_e32 v16, v77, v17
	v_mul_f16_sdwa v14, v76, v28 dst_sel:DWORD dst_unused:UNUSED_PAD src0_sel:WORD_1 src1_sel:DWORD
	s_waitcnt vmcnt(11)
	v_lshrrev_b32_e32 v17, 16, v19
	s_waitcnt vmcnt(10)
	v_mul_f16_sdwa v25, v75, v19 dst_sel:DWORD dst_unused:UNUSED_PAD src0_sel:WORD_1 src1_sel:DWORD
	v_fma_f16 v26, v76, v28, -v29
	v_pack_b32_f16 v16, v16, v27
	v_fmac_f16_e32 v14, v76, v18
	v_mul_f16_sdwa v18, v75, v17 dst_sel:DWORD dst_unused:UNUSED_PAD src0_sel:WORD_1 src1_sel:DWORD
	v_fma_f16 v17, v75, v17, -v25
	s_waitcnt vmcnt(6)
	v_lshrrev_b32_e32 v25, 16, v20
	v_mul_f16_sdwa v27, v74, v20 dst_sel:DWORD dst_unused:UNUSED_PAD src0_sel:WORD_1 src1_sel:DWORD
	ds_write2_b32 v11, v13, v16 offset0:68 offset1:230
	v_pack_b32_f16 v16, v14, v26
	v_fmac_f16_e32 v18, v75, v19
	v_mul_f16_sdwa v13, v74, v25 dst_sel:DWORD dst_unused:UNUSED_PAD src0_sel:WORD_1 src1_sel:DWORD
	s_waitcnt vmcnt(5)
	v_lshrrev_b32_e32 v14, 16, v21
	v_fma_f16 v19, v74, v25, -v27
	v_mul_f16_sdwa v25, v73, v21 dst_sel:DWORD dst_unused:UNUSED_PAD src0_sel:WORD_1 src1_sel:DWORD
	v_pack_b32_f16 v17, v18, v17
	v_fmac_f16_e32 v13, v74, v20
	v_mul_f16_sdwa v18, v73, v14 dst_sel:DWORD dst_unused:UNUSED_PAD src0_sel:WORD_1 src1_sel:DWORD
	s_waitcnt vmcnt(4)
	v_lshrrev_b32_e32 v20, 16, v22
	v_fma_f16 v14, v73, v14, -v25
	v_mul_f16_sdwa v25, v72, v22 dst_sel:DWORD dst_unused:UNUSED_PAD src0_sel:WORD_1 src1_sel:DWORD
	v_pack_b32_f16 v19, v13, v19
	v_fmac_f16_e32 v18, v73, v21
	s_waitcnt vmcnt(3)
	v_lshrrev_b32_e32 v13, 16, v23
	s_waitcnt vmcnt(2)
	v_lshrrev_b32_e32 v26, 16, v24
	v_mul_f16_sdwa v21, v72, v20 dst_sel:DWORD dst_unused:UNUSED_PAD src0_sel:WORD_1 src1_sel:DWORD
	v_fma_f16 v20, v72, v20, -v25
	s_waitcnt vmcnt(1)
	v_mul_f16_sdwa v25, v71, v23 dst_sel:DWORD dst_unused:UNUSED_PAD src0_sel:WORD_1 src1_sel:DWORD
	v_pack_b32_f16 v18, v18, v14
	v_mul_f16_sdwa v14, v71, v13 dst_sel:DWORD dst_unused:UNUSED_PAD src0_sel:WORD_1 src1_sel:DWORD
	s_waitcnt vmcnt(0)
	v_mul_f16_sdwa v27, v70, v26 dst_sel:DWORD dst_unused:UNUSED_PAD src0_sel:WORD_1 src1_sel:DWORD
	v_mul_f16_sdwa v28, v70, v24 dst_sel:DWORD dst_unused:UNUSED_PAD src0_sel:WORD_1 src1_sel:DWORD
	v_fmac_f16_e32 v21, v72, v22
	v_fma_f16 v22, v71, v13, -v25
	v_fmac_f16_e32 v14, v71, v23
	v_fmac_f16_e32 v27, v70, v24
	v_fma_f16 v23, v70, v26, -v28
	v_add_nc_u32_e32 v13, 0xe00, v69
	v_pack_b32_f16 v20, v21, v20
	v_pack_b32_f16 v21, v14, v22
	v_add_nc_u32_e32 v14, 0x1400, v69
	v_pack_b32_f16 v22, v27, v23
	ds_write2_b32 v12, v16, v17 offset0:8 offset1:170
	ds_write2_b32 v13, v19, v18 offset0:76 offset1:238
	ds_write2_b32 v14, v20, v21 offset0:16 offset1:178
	ds_write_b32 v69, v22 offset:6480
	s_and_saveexec_b32 s12, vcc_lo
	s_cbranch_execz .LBB0_3
; %bb.2:
	v_mad_u64_u32 v[9:10], null, 0xffffe83c, s0, v[9:10]
	s_mulk_i32 s1, 0xe83c
	s_clause 0x1
	global_load_dword v17, v[6:7], off offset:396
	global_load_dword v18, v[6:7], off offset:1044
	s_sub_i32 s0, s1, s0
	v_add_nc_u32_e32 v36, 0x100, v69
	v_add_nc_u32_e32 v37, 0x600, v69
	;; [unrolled: 1-line block ×4, first 2 shown]
	v_add_co_u32 v15, s0, v9, s2
	v_add_co_ci_u32_e64 v16, s0, s3, v10, s0
	global_load_dword v19, v[9:10], off
	v_add_co_u32 v9, s0, v15, s2
	v_add_co_ci_u32_e64 v10, s0, s3, v16, s0
	global_load_dword v20, v[15:16], off
	;; [unrolled: 3-line block ×3, first 2 shown]
	v_add_co_u32 v9, s0, v15, s2
	v_add_co_ci_u32_e64 v10, s0, s3, v16, s0
	s_clause 0x1
	global_load_dword v22, v[6:7], off offset:1692
	global_load_dword v23, v[4:5], off offset:292
	global_load_dword v24, v[15:16], off
	global_load_dword v25, v[9:10], off
	v_add_co_u32 v9, s0, v9, s2
	v_add_co_ci_u32_e64 v10, s0, s3, v10, s0
	s_clause 0x3
	global_load_dword v26, v[4:5], off offset:940
	global_load_dword v27, v[4:5], off offset:1588
	;; [unrolled: 1-line block ×4, first 2 shown]
	v_add_co_u32 v15, s0, v9, s2
	v_add_co_ci_u32_e64 v16, s0, s3, v10, s0
	global_load_dword v30, v[9:10], off
	v_add_co_u32 v9, s0, v15, s2
	v_add_co_ci_u32_e64 v10, s0, s3, v16, s0
	global_load_dword v31, v[15:16], off
	;; [unrolled: 3-line block ×4, first 2 shown]
	v_add_co_u32 v15, s0, v9, s2
	v_add_co_ci_u32_e64 v16, s0, s3, v10, s0
	global_load_dword v34, v[2:3], off offset:1484
	global_load_dword v9, v[9:10], off
	global_load_dword v10, v[15:16], off
	s_clause 0x1
	global_load_dword v15, v[0:1], off offset:84
	global_load_dword v16, v[0:1], off offset:732
	s_waitcnt vmcnt(19)
	v_lshrrev_b32_e32 v35, 16, v19
	v_mul_f16_sdwa v38, v17, v19 dst_sel:DWORD dst_unused:UNUSED_PAD src0_sel:WORD_1 src1_sel:DWORD
	v_mul_f16_sdwa v39, v17, v35 dst_sel:DWORD dst_unused:UNUSED_PAD src0_sel:WORD_1 src1_sel:DWORD
	s_waitcnt vmcnt(18)
	v_lshrrev_b32_e32 v40, 16, v20
	v_mul_f16_sdwa v42, v18, v20 dst_sel:DWORD dst_unused:UNUSED_PAD src0_sel:WORD_1 src1_sel:DWORD
	v_fma_f16 v35, v17, v35, -v38
	v_fmac_f16_e32 v39, v17, v19
	v_mul_f16_sdwa v17, v18, v40 dst_sel:DWORD dst_unused:UNUSED_PAD src0_sel:WORD_1 src1_sel:DWORD
	s_waitcnt vmcnt(17)
	v_lshrrev_b32_e32 v19, 16, v21
	v_fma_f16 v38, v18, v40, -v42
	s_waitcnt vmcnt(16)
	v_mul_f16_sdwa v40, v22, v21 dst_sel:DWORD dst_unused:UNUSED_PAD src0_sel:WORD_1 src1_sel:DWORD
	v_pack_b32_f16 v35, v39, v35
	v_fmac_f16_e32 v17, v18, v20
	v_mul_f16_sdwa v18, v22, v19 dst_sel:DWORD dst_unused:UNUSED_PAD src0_sel:WORD_1 src1_sel:DWORD
	s_waitcnt vmcnt(14)
	v_lshrrev_b32_e32 v20, 16, v24
	v_mul_f16_sdwa v39, v23, v24 dst_sel:DWORD dst_unused:UNUSED_PAD src0_sel:WORD_1 src1_sel:DWORD
	v_fma_f16 v19, v22, v19, -v40
	v_pack_b32_f16 v17, v17, v38
	v_fmac_f16_e32 v18, v22, v21
	v_mul_f16_sdwa v21, v23, v20 dst_sel:DWORD dst_unused:UNUSED_PAD src0_sel:WORD_1 src1_sel:DWORD
	v_fma_f16 v20, v23, v20, -v39
	s_waitcnt vmcnt(13)
	v_lshrrev_b32_e32 v22, 16, v25
	ds_write2_b32 v36, v35, v17 offset0:35 offset1:197
	v_pack_b32_f16 v17, v18, v19
	v_fmac_f16_e32 v21, v23, v24
	s_waitcnt vmcnt(8)
	v_lshrrev_b32_e32 v19, 16, v30
	v_mul_f16_sdwa v38, v26, v25 dst_sel:DWORD dst_unused:UNUSED_PAD src0_sel:WORD_1 src1_sel:DWORD
	v_mul_f16_sdwa v18, v26, v22 dst_sel:DWORD dst_unused:UNUSED_PAD src0_sel:WORD_1 src1_sel:DWORD
	;; [unrolled: 1-line block ×3, first 2 shown]
	v_pack_b32_f16 v20, v21, v20
	v_mul_f16_sdwa v21, v27, v19 dst_sel:DWORD dst_unused:UNUSED_PAD src0_sel:WORD_1 src1_sel:DWORD
	v_fma_f16 v22, v26, v22, -v38
	v_fmac_f16_e32 v18, v26, v25
	s_waitcnt vmcnt(7)
	v_lshrrev_b32_e32 v24, 16, v31
	v_fma_f16 v19, v27, v19, -v23
	v_mul_f16_sdwa v23, v28, v31 dst_sel:DWORD dst_unused:UNUSED_PAD src0_sel:WORD_1 src1_sel:DWORD
	v_fmac_f16_e32 v21, v27, v30
	s_waitcnt vmcnt(6)
	v_lshrrev_b32_e32 v25, 16, v32
	v_pack_b32_f16 v18, v18, v22
	v_mul_f16_sdwa v22, v28, v24 dst_sel:DWORD dst_unused:UNUSED_PAD src0_sel:WORD_1 src1_sel:DWORD
	v_fma_f16 v23, v28, v24, -v23
	v_mul_f16_sdwa v24, v29, v32 dst_sel:DWORD dst_unused:UNUSED_PAD src0_sel:WORD_1 src1_sel:DWORD
	v_pack_b32_f16 v19, v21, v19
	v_mul_f16_sdwa v21, v29, v25 dst_sel:DWORD dst_unused:UNUSED_PAD src0_sel:WORD_1 src1_sel:DWORD
	v_fmac_f16_e32 v22, v28, v31
	s_waitcnt vmcnt(5)
	v_lshrrev_b32_e32 v26, 16, v33
	v_fma_f16 v24, v29, v25, -v24
	s_waitcnt vmcnt(4)
	v_mul_f16_sdwa v25, v34, v33 dst_sel:DWORD dst_unused:UNUSED_PAD src0_sel:WORD_1 src1_sel:DWORD
	v_fmac_f16_e32 v21, v29, v32
	s_waitcnt vmcnt(3)
	v_lshrrev_b32_e32 v27, 16, v9
	s_waitcnt vmcnt(2)
	v_lshrrev_b32_e32 v28, 16, v10
	v_pack_b32_f16 v22, v22, v23
	v_mul_f16_sdwa v23, v34, v26 dst_sel:DWORD dst_unused:UNUSED_PAD src0_sel:WORD_1 src1_sel:DWORD
	v_fma_f16 v25, v34, v26, -v25
	s_waitcnt vmcnt(1)
	v_mul_f16_sdwa v26, v15, v9 dst_sel:DWORD dst_unused:UNUSED_PAD src0_sel:WORD_1 src1_sel:DWORD
	v_pack_b32_f16 v21, v21, v24
	v_mul_f16_sdwa v24, v15, v27 dst_sel:DWORD dst_unused:UNUSED_PAD src0_sel:WORD_1 src1_sel:DWORD
	s_waitcnt vmcnt(0)
	v_mul_f16_sdwa v29, v16, v28 dst_sel:DWORD dst_unused:UNUSED_PAD src0_sel:WORD_1 src1_sel:DWORD
	v_mul_f16_sdwa v30, v16, v10 dst_sel:DWORD dst_unused:UNUSED_PAD src0_sel:WORD_1 src1_sel:DWORD
	v_fmac_f16_e32 v23, v34, v33
	v_fma_f16 v26, v15, v27, -v26
	v_fmac_f16_e32 v24, v15, v9
	v_fmac_f16_e32 v29, v16, v10
	v_fma_f16 v9, v16, v28, -v30
	v_add_nc_u32_e32 v10, 0x1000, v69
	v_pack_b32_f16 v15, v23, v25
	v_pack_b32_f16 v16, v24, v26
	v_add_nc_u32_e32 v23, 0x1500, v69
	v_pack_b32_f16 v9, v29, v9
	ds_write2_b32 v37, v17, v20 offset0:39 offset1:201
	ds_write2_b32 v41, v18, v19 offset0:43 offset1:205
	;; [unrolled: 1-line block ×4, first 2 shown]
	ds_write_b32 v69, v9 offset:6876
.LBB0_3:
	s_or_b32 exec_lo, exec_lo, s12
	s_waitcnt lgkmcnt(0)
	s_barrier
	buffer_gl0_inv
	ds_read2_b32 v[9:10], v69 offset1:162
	ds_read2_b32 v[27:28], v11 offset0:68 offset1:230
	ds_read2_b32 v[11:12], v12 offset0:8 offset1:170
	;; [unrolled: 1-line block ×4, first 2 shown]
	ds_read_b32 v33, v69 offset:6480
	s_load_dwordx2 s[0:1], s[4:5], 0x8
	v_mov_b32_e32 v13, 0
                                        ; implicit-def: $vgpr29
                                        ; implicit-def: $vgpr16
                                        ; implicit-def: $vgpr18
                                        ; implicit-def: $vgpr20
                                        ; implicit-def: $vgpr22
	s_and_saveexec_b32 s2, vcc_lo
	s_cbranch_execz .LBB0_5
; %bb.4:
	v_add_nc_u32_e32 v13, 0x100, v69
	v_add_nc_u32_e32 v15, 0x600, v69
	;; [unrolled: 1-line block ×5, first 2 shown]
	ds_read2_b32 v[13:14], v13 offset0:35 offset1:197
	ds_read2_b32 v[21:22], v15 offset0:39 offset1:201
	;; [unrolled: 1-line block ×5, first 2 shown]
	ds_read_b32 v29, v69 offset:6876
.LBB0_5:
	s_or_b32 exec_lo, exec_lo, s2
	s_waitcnt lgkmcnt(0)
	v_pk_add_f16 v34, v9, v10
	v_pk_add_f16 v39, v33, v10
	v_pk_add_f16 v40, v10, v33 neg_lo:[0,1] neg_hi:[0,1]
	v_pk_add_f16 v10, v26, v27
	v_pk_add_f16 v41, v27, v26 neg_lo:[0,1] neg_hi:[0,1]
	v_pk_add_f16 v34, v34, v27
	v_pk_add_f16 v27, v25, v28
	v_pk_add_f16 v42, v28, v25 neg_lo:[0,1] neg_hi:[0,1]
	v_mov_b32_e32 v31, 0xb853
	v_mov_b32_e32 v36, 0xbb47
	v_pk_add_f16 v34, v34, v28
	v_mov_b32_e32 v32, 0xbbeb
	v_pk_mul_f16 v35, 0x3abb36a6, v39
	v_mul_f16_sdwa v43, v40, v31 dst_sel:DWORD dst_unused:UNUSED_PAD src0_sel:WORD_1 src1_sel:DWORD
	v_lshrrev_b32_e32 v44, 16, v39
	v_pk_add_f16 v28, v34, v11
	v_mul_f16_e32 v45, 0xbb47, v40
	v_mul_f16_sdwa v34, v41, v36 dst_sel:DWORD dst_unused:UNUSED_PAD src0_sel:WORD_1 src1_sel:DWORD
	v_fma_f16 v48, v39, 0x3abb, -v43
	v_pk_mul_f16 v37, 0x36a6b93d, v10
	v_pk_add_f16 v38, v28, v12
	v_lshrrev_b32_e32 v47, 16, v10
	v_mul_f16_e32 v49, 0xba0c, v41
	v_mul_f16_sdwa v28, v42, v32 dst_sel:DWORD dst_unused:UNUSED_PAD src0_sel:WORD_1 src1_sel:DWORD
	v_pk_mul_f16 v46, 0xb08ebbad, v27
	v_pk_add_f16 v38, v38, v23
	v_pk_fma_f16 v50, 0xbb47b853, v40, v35 op_sel:[0,0,1] op_sel_hi:[1,1,0] neg_lo:[0,1,0] neg_hi:[0,1,0]
	v_pk_fma_f16 v51, 0xbb47b853, v40, v35 op_sel:[0,0,1] op_sel_hi:[1,1,0]
	v_fmamk_f16 v52, v44, 0x36a6, v45
	v_fma_f16 v53, v10, 0x36a6, -v34
	v_pk_add_f16 v38, v38, v24
	v_pk_fma_f16 v35, 0xba0cbb47, v41, v37 op_sel:[0,0,1] op_sel_hi:[1,1,0] neg_lo:[0,1,0] neg_hi:[0,1,0]
	v_pk_fma_f16 v54, 0xba0cbb47, v41, v37 op_sel:[0,0,1] op_sel_hi:[1,1,0]
	v_bfi_b32 v37, 0xffff, v51, v50
	v_pk_fma_f16 v57, 0x3482bbeb, v42, v46 op_sel:[0,0,1] op_sel_hi:[1,1,0]
	v_pk_add_f16 v25, v38, v25
	v_add_f16_e32 v38, v9, v48
	v_add_f16_sdwa v48, v9, v52 dst_sel:DWORD dst_unused:UNUSED_PAD src0_sel:WORD_1 src1_sel:DWORD
	v_mov_b32_e32 v30, 0xba0c
	v_bfi_b32 v52, 0xffff, v54, v35
	v_pk_add_f16 v55, v25, v26
	v_pk_fma_f16 v25, 0x3482bbeb, v42, v46 op_sel:[0,0,1] op_sel_hi:[1,1,0] neg_lo:[0,1,0] neg_hi:[0,1,0]
	v_add_f16_e32 v38, v53, v38
	v_fmamk_f16 v46, v47, 0xb93d, v49
	v_fma_f16 v53, v27, 0xb08e, -v28
	v_pk_add_f16 v37, v9, v37 op_sel:[1,0] op_sel_hi:[0,1]
	v_pk_add_f16 v26, v24, v11
	v_lshrrev_b32_e32 v58, 16, v27
	v_add_f16_e32 v46, v46, v48
	v_add_f16_e32 v48, v53, v38
	v_pk_add_f16 v53, v11, v24 neg_lo:[0,1] neg_hi:[0,1]
	v_pk_add_f16 v37, v52, v37
	v_bfi_b32 v52, 0xffff, v57, v25
	v_mul_f16_e32 v59, 0x3482, v42
	v_pk_add_f16 v38, v23, v12
	v_mul_f16_sdwa v24, v53, v30 dst_sel:DWORD dst_unused:UNUSED_PAD src0_sel:WORD_1 src1_sel:DWORD
	v_pk_add_f16 v60, v12, v23 neg_lo:[0,1] neg_hi:[0,1]
	v_pk_add_f16 v11, v52, v37
	v_pk_mul_f16 v52, 0xb93db08e, v26
	v_fmamk_f16 v56, v58, 0xbbad, v59
	v_fma_f16 v23, v26, 0xb93d, -v24
	v_lshrrev_b32_e32 v63, 16, v26
	v_mul_f16_e32 v64, 0x3beb, v53
	v_pk_fma_f16 v37, 0x3bebba0c, v53, v52 op_sel:[0,0,1] op_sel_hi:[1,1,0] neg_lo:[0,1,0] neg_hi:[0,1,0]
	v_pk_fma_f16 v52, 0x3bebba0c, v53, v52 op_sel:[0,0,1] op_sel_hi:[1,1,0]
	v_pk_mul_f16 v61, 0xbbad3abb, v38
	v_add_f16_e32 v46, v56, v46
	v_add_f16_e32 v48, v23, v48
	v_fmamk_f16 v23, v63, 0xb08e, v64
	v_mov_b32_e32 v82, 0xb482
	v_bfi_b32 v62, 0xffff, v52, v37
	v_pk_fma_f16 v12, 0x3853b482, v60, v61 op_sel:[0,0,1] op_sel_hi:[1,1,0] neg_lo:[0,1,0] neg_hi:[0,1,0]
	v_pk_fma_f16 v65, 0x3853b482, v60, v61 op_sel:[0,0,1] op_sel_hi:[1,1,0]
	v_add_f16_e32 v46, v23, v46
	v_mul_f16_sdwa v23, v60, v82 dst_sel:DWORD dst_unused:UNUSED_PAD src0_sel:WORD_1 src1_sel:DWORD
	v_pk_add_f16 v11, v62, v11
	v_lshrrev_b32_e32 v62, 16, v38
	v_bfi_b32 v56, 0xffff, v65, v12
	v_mul_f16_e32 v65, 0x3853, v60
	v_mul_f16_sdwa v66, v40, v32 dst_sel:DWORD dst_unused:UNUSED_PAD src0_sel:WORD_1 src1_sel:DWORD
	v_mov_b32_e32 v67, 0x3482
	v_fma_f16 v68, v38, 0xbbad, -v23
	v_mul_f16_e32 v84, 0xbbeb, v40
	v_pk_add_f16 v56, v56, v11
	v_fmamk_f16 v11, v62, 0x3abb, v65
	v_fma_f16 v83, v39, 0xb08e, -v66
	v_mul_f16_sdwa v85, v41, v67 dst_sel:DWORD dst_unused:UNUSED_PAD src0_sel:WORD_1 src1_sel:DWORD
	v_add_f16_e32 v48, v68, v48
	v_fmamk_f16 v68, v44, 0xb08e, v84
	v_mul_f16_e32 v86, 0x3482, v41
	v_add_f16_e32 v46, v11, v46
	v_add_f16_e32 v11, v9, v83
	v_fma_f16 v83, v10, 0xbbad, -v85
	v_mul_f16_sdwa v87, v40, v30 dst_sel:DWORD dst_unused:UNUSED_PAD src0_sel:WORD_1 src1_sel:DWORD
	v_add_f16_sdwa v68, v9, v68 dst_sel:DWORD dst_unused:UNUSED_PAD src0_sel:WORD_1 src1_sel:DWORD
	v_fmamk_f16 v89, v47, 0xbbad, v86
	v_mov_b32_e32 v90, 0x3beb
	v_mul_f16_e32 v91, 0xba0c, v40
	v_mov_b32_e32 v98, 0x3b47
	v_add_f16_e32 v11, v83, v11
	v_fma_f16 v83, v39, 0xb93d, -v87
	v_add_f16_e32 v68, v89, v68
	v_mul_f16_sdwa v89, v41, v90 dst_sel:DWORD dst_unused:UNUSED_PAD src0_sel:WORD_1 src1_sel:DWORD
	v_fmamk_f16 v92, v44, 0xb93d, v91
	v_mul_f16_e32 v93, 0x3beb, v41
	v_mul_f16_sdwa v94, v42, v98 dst_sel:DWORD dst_unused:UNUSED_PAD src0_sel:WORD_1 src1_sel:DWORD
	v_mul_f16_e32 v95, 0x3b47, v42
	v_add_f16_e32 v83, v9, v83
	v_fma_f16 v96, v10, 0xb08e, -v89
	v_add_f16_sdwa v92, v9, v92 dst_sel:DWORD dst_unused:UNUSED_PAD src0_sel:WORD_1 src1_sel:DWORD
	v_fmamk_f16 v97, v47, 0xb08e, v93
	v_fma_f16 v99, v27, 0x36a6, -v94
	v_fmamk_f16 v100, v58, 0x36a6, v95
	v_mul_f16_sdwa v101, v42, v31 dst_sel:DWORD dst_unused:UNUSED_PAD src0_sel:WORD_1 src1_sel:DWORD
	v_add_f16_e32 v83, v96, v83
	v_add_f16_e32 v92, v97, v92
	;; [unrolled: 1-line block ×4, first 2 shown]
	v_fma_f16 v96, v27, 0x3abb, -v101
	v_mul_f16_e32 v97, 0xb853, v42
	v_mul_f16_sdwa v99, v53, v31 dst_sel:DWORD dst_unused:UNUSED_PAD src0_sel:WORD_1 src1_sel:DWORD
	v_mul_f16_e32 v100, 0xb853, v53
	v_mul_f16_sdwa v102, v53, v82 dst_sel:DWORD dst_unused:UNUSED_PAD src0_sel:WORD_1 src1_sel:DWORD
	v_add_f16_e32 v83, v96, v83
	v_fmamk_f16 v96, v58, 0x3abb, v97
	v_fma_f16 v103, v26, 0x3abb, -v99
	v_fmamk_f16 v104, v63, 0x3abb, v100
	v_fma_f16 v105, v26, 0xbbad, -v102
	v_mul_f16_e32 v106, 0xb482, v53
	v_add_f16_e32 v92, v96, v92
	v_add_f16_e32 v96, v103, v11
	;; [unrolled: 1-line block ×4, first 2 shown]
	v_fmamk_f16 v11, v63, 0xbbad, v106
	v_mul_f16_sdwa v103, v60, v30 dst_sel:DWORD dst_unused:UNUSED_PAD src0_sel:WORD_1 src1_sel:DWORD
	v_mul_f16_sdwa v104, v60, v98 dst_sel:DWORD dst_unused:UNUSED_PAD src0_sel:WORD_1 src1_sel:DWORD
	v_mul_f16_e32 v105, 0x3b47, v60
	v_mul_f16_e32 v107, 0xb93d, v62
	v_add_f16_e32 v92, v11, v92
	v_fma_f16 v108, v38, 0xb93d, -v103
	v_fma_f16 v109, v38, 0x36a6, -v104
	v_fmamk_f16 v110, v62, 0x36a6, v105
	v_fmamk_f16 v111, v60, 0xba0c, v107
	v_mul_lo_u16 v88, v79, 11
	v_mov_b32_e32 v11, 2
	v_add_f16_e32 v96, v108, v96
	v_add_f16_e32 v108, v109, v83
	v_add_f16_e32 v92, v110, v92
	v_add_f16_e32 v68, v111, v68
	v_alignbit_b32 v46, v46, v56, 16
	v_pack_b32_f16 v48, v48, v56
	v_lshlrev_b32_sdwa v83, v11, v88 dst_sel:DWORD dst_unused:UNUSED_PAD src0_sel:DWORD src1_sel:WORD_0
	v_pack_b32_f16 v56, v108, v92
	v_pack_b32_f16 v68, v96, v68
	s_barrier
	buffer_gl0_inv
	ds_write2_b32 v83, v48, v46 offset0:1 offset1:2
	ds_write2_b32 v83, v68, v56 offset0:3 offset1:4
	v_pk_mul_f16 v48, 0xbbad, v39 op_sel_hi:[0,1]
	v_fmac_f16_e32 v43, 0x3abb, v39
	v_fma_f16 v45, v44, 0x36a6, -v45
	v_fma_f16 v46, v44, 0xb08e, -v84
	v_fmac_f16_e32 v66, 0xb08e, v39
	v_alignbit_b32 v51, s0, v51, 16
	v_fmac_f16_e32 v87, 0xb93d, v39
	v_pk_fma_f16 v39, 0xb482, v40, v48 op_sel:[0,0,1] op_sel_hi:[0,1,0] neg_lo:[0,1,0] neg_hi:[0,1,0]
	v_add_f16_e32 v84, v9, v43
	v_pk_mul_f16 v43, 0x3abb, v10 op_sel_hi:[0,1]
	v_fma_f16 v44, v44, 0xb93d, -v91
	v_pk_fma_f16 v40, 0xb482, v40, v48 op_sel:[0,0,1] op_sel_hi:[0,1,0]
	v_pk_add_f16 v68, v9, v51
	v_add_f16_sdwa v88, v9, v45 dst_sel:DWORD dst_unused:UNUSED_PAD src0_sel:WORD_1 src1_sel:DWORD
	v_alignbit_b32 v45, s0, v39, 16
	v_add_f16_sdwa v91, v9, v46 dst_sel:DWORD dst_unused:UNUSED_PAD src0_sel:WORD_1 src1_sel:DWORD
	v_pk_fma_f16 v46, 0x3853, v41, v43 op_sel:[0,0,1] op_sel_hi:[0,1,0] neg_lo:[0,1,0] neg_hi:[0,1,0]
	v_pk_mul_f16 v48, 0xb93d, v27 op_sel_hi:[0,1]
	v_alignbit_b32 v51, s0, v9, 16
	v_pk_add_f16 v45, v9, v45
	v_pk_add_f16 v40, v9, v40 op_sel:[1,0] op_sel_hi:[0,1]
	v_alignbit_b32 v56, s0, v46, 16
	v_pk_fma_f16 v41, 0x3853, v41, v43 op_sel:[0,0,1] op_sel_hi:[0,1,0]
	v_pk_fma_f16 v43, 0xba0c, v42, v48 op_sel:[0,0,1] op_sel_hi:[0,1,0] neg_lo:[0,1,0] neg_hi:[0,1,0]
	v_pk_add_f16 v39, v51, v39
	v_pk_mul_f16 v51, 0x36a6, v26 op_sel_hi:[0,1]
	v_pk_add_f16 v45, v56, v45
	v_pk_add_f16 v40, v41, v40
	v_alignbit_b32 v41, s0, v43, 16
	v_pk_fma_f16 v42, 0xba0c, v42, v48 op_sel:[0,0,1] op_sel_hi:[0,1,0]
	v_pk_fma_f16 v48, 0x3b47, v53, v51 op_sel:[0,0,1] op_sel_hi:[0,1,0] neg_lo:[0,1,0] neg_hi:[0,1,0]
	v_add_f16_sdwa v92, v9, v44 dst_sel:DWORD dst_unused:UNUSED_PAD src0_sel:WORD_1 src1_sel:DWORD
	v_pk_add_f16 v39, v46, v39
	v_pk_mul_f16 v44, 0xb08e, v38 op_sel_hi:[0,1]
	v_pk_add_f16 v41, v41, v45
	v_pk_add_f16 v40, v42, v40
	v_alignbit_b32 v42, s0, v48, 16
	v_pk_fma_f16 v45, 0x3b47, v53, v51 op_sel:[0,0,1] op_sel_hi:[0,1,0]
	v_pk_add_f16 v39, v43, v39
	v_pk_fma_f16 v46, 0xbbeb, v60, v44 op_sel:[0,0,1] op_sel_hi:[0,1,0] neg_lo:[0,1,0] neg_hi:[0,1,0]
	v_add_f16_e32 v66, v9, v66
	v_add_f16_e32 v87, v9, v87
	v_add_f16_sdwa v9, v9, v50 dst_sel:DWORD dst_unused:UNUSED_PAD src0_sel:WORD_1 src1_sel:DWORD
	v_pk_add_f16 v43, v42, v41
	v_pk_add_f16 v45, v45, v40
	v_pk_add_f16 v41, v14, v29 neg_lo:[0,1] neg_hi:[0,1]
	v_pk_add_f16 v48, v48, v39
	v_pk_fma_f16 v44, 0xbbeb, v60, v44 op_sel:[0,0,1] op_sel_hi:[0,1,0]
	v_alignbit_b32 v50, s0, v46, 16
	v_pk_add_f16 v39, v29, v14
	v_pk_add_f16 v40, v21, v16 neg_lo:[0,1] neg_hi:[0,1]
	v_pk_add_f16 v46, v46, v48
	v_pk_add_f16 v45, v44, v45
	;; [unrolled: 1-line block ×3, first 2 shown]
	v_lshrrev_b32_e32 v53, 16, v39
	v_mul_f16_e32 v44, 0xbb47, v41
	v_mul_f16_sdwa v43, v40, v36 dst_sel:DWORD dst_unused:UNUSED_PAD src0_sel:WORD_1 src1_sel:DWORD
	v_pk_add_f16 v36, v16, v21
	v_alignbit_b32 v108, v46, v45, 16
	v_pack_b32_f16 v109, v48, v45
	v_fma_f16 v48, v53, 0x36a6, -v44
	v_mul_f16_sdwa v46, v41, v32 dst_sel:DWORD dst_unused:UNUSED_PAD src0_sel:WORD_1 src1_sel:DWORD
	v_lshrrev_b32_e32 v56, 16, v36
	v_mul_f16_e32 v45, 0xba0c, v40
	v_alignbit_b32 v54, s0, v54, 16
	v_add_f16_sdwa v111, v48, v13 dst_sel:DWORD dst_unused:UNUSED_PAD src0_sel:DWORD src1_sel:WORD_1
	v_fmamk_f16 v112, v39, 0xb08e, v46
	v_mul_f16_sdwa v48, v40, v67 dst_sel:DWORD dst_unused:UNUSED_PAD src0_sel:WORD_1 src1_sel:DWORD
	v_fma_f16 v67, v56, 0xb93d, -v45
	v_fma_f16 v49, v47, 0xb93d, -v49
	v_alignbit_b32 v57, s0, v57, 16
	v_add_f16_e32 v112, v112, v13
	v_fmamk_f16 v114, v36, 0xbbad, v48
	v_add_f16_e32 v67, v67, v111
	v_add_f16_e32 v49, v49, v88
	v_fma_f16 v59, v58, 0xbbad, -v59
	v_fmac_f16_e32 v85, 0xbbad, v10
	v_add_f16_e32 v111, v114, v112
	v_pk_add_f16 v112, v55, v33
	v_pk_add_f16 v33, v54, v68
	v_fma_f16 v54, v47, 0xbbad, -v86
	v_fma_f16 v47, v47, 0xb08e, -v93
	v_fmac_f16_e32 v89, 0xb08e, v10
	v_add_f16_e32 v49, v59, v49
	v_pk_add_f16 v33, v57, v33
	v_fma_f16 v57, v58, 0x36a6, -v95
	v_add_f16_e32 v47, v47, v92
	v_fma_f16 v58, v58, 0x3abb, -v97
	v_fma_f16 v59, v63, 0xb08e, -v64
	v_add_f16_e32 v55, v85, v66
	v_add_f16_e32 v54, v54, v91
	;; [unrolled: 1-line block ×3, first 2 shown]
	v_fmac_f16_e32 v101, 0x3abb, v27
	v_add_f16_e32 v47, v58, v47
	v_add_f16_e32 v49, v59, v49
	v_fma_f16 v58, v63, 0xbbad, -v106
	v_fma_f16 v59, v62, 0x3abb, -v65
	v_fmac_f16_e32 v94, 0x36a6, v27
	v_add_f16_e32 v54, v57, v54
	v_add_f16_e32 v57, v101, v66
	v_fmac_f16_e32 v102, 0xbbad, v26
	v_fma_f16 v63, v63, 0x3abb, -v100
	v_add_f16_e32 v47, v58, v47
	v_add_f16_e32 v58, v59, v49
	v_pk_mul_f16 v59, 0x3853b482, v60
	v_mul_f16_e32 v60, 0xba0c, v60
	v_lshlrev_b32_e32 v33, 16, v33
	v_add_f16_e32 v55, v94, v55
	v_fmac_f16_e32 v99, 0x3abb, v26
	v_add_f16_e32 v57, v102, v57
	v_fma_f16 v49, v62, 0x36a6, -v105
	v_fmac_f16_e32 v104, 0x36a6, v38
	v_pack_b32_f16 v61, v63, v61
	v_bfi_b32 v54, 0xffff, v54, v59
	v_pk_add_f16 v59, v107, v60 neg_lo:[0,1] neg_hi:[0,1]
	v_pk_add_f16 v33, v52, v33
	v_mul_f16_sdwa v42, v41, v31 dst_sel:DWORD dst_unused:UNUSED_PAD src0_sel:WORD_1 src1_sel:DWORD
	v_add_f16_e32 v55, v99, v55
	v_fmac_f16_e32 v103, 0xb93d, v38
	v_add_f16_e32 v52, v104, v57
	v_mul_f16_sdwa v62, v41, v30 dst_sel:DWORD dst_unused:UNUSED_PAD src0_sel:WORD_1 src1_sel:DWORD
	v_add_f16_e32 v47, v49, v47
	v_pk_add_f16 v49, v61, v54
	v_bfi_b32 v33, 0xffff, v59, v33
	v_mul_f16_e32 v89, 0xba0c, v41
	v_fmamk_f16 v50, v39, 0x3abb, v42
	v_add_f16_e32 v55, v103, v55
	v_fmamk_f16 v54, v39, 0xb93d, v62
	v_pack_b32_f16 v100, v52, v47
	v_mul_f16_sdwa v63, v40, v90 dst_sel:DWORD dst_unused:UNUSED_PAD src0_sel:WORD_1 src1_sel:DWORD
	v_pk_add_f16 v47, v33, v49
	v_pk_add_f16 v49, v22, v15 neg_lo:[0,1] neg_hi:[0,1]
	v_fma_f16 v57, v53, 0xb93d, -v89
	v_mul_f16_e32 v90, 0x3beb, v40
	v_pk_add_f16 v33, v15, v22
	v_add_f16_e32 v96, v50, v13
	v_mul_f16_e32 v50, 0xbbeb, v41
	v_add_f16_e32 v52, v54, v13
	v_fmamk_f16 v59, v36, 0xb08e, v63
	v_mul_f16_sdwa v54, v49, v32 dst_sel:DWORD dst_unused:UNUSED_PAD src0_sel:WORD_1 src1_sel:DWORD
	v_alignbit_b32 v101, v58, v47, 16
	v_pack_b32_f16 v102, v55, v47
	v_add_f16_sdwa v32, v57, v13 dst_sel:DWORD dst_unused:UNUSED_PAD src0_sel:DWORD src1_sel:WORD_1
	v_fma_f16 v47, v56, 0xb08e, -v90
	v_lshrrev_b32_e32 v94, 16, v33
	v_mul_f16_e32 v57, 0x3482, v49
	v_mul_f16_sdwa v60, v49, v98 dst_sel:DWORD dst_unused:UNUSED_PAD src0_sel:WORD_1 src1_sel:DWORD
	v_fmamk_f16 v110, v36, 0x36a6, v43
	v_fma_f16 v113, v53, 0xb08e, -v50
	v_mul_f16_e32 v51, 0x3482, v40
	v_add_f16_e32 v58, v59, v52
	v_add_f16_e32 v47, v47, v32
	v_fma_f16 v32, v94, 0xbbad, -v57
	v_fmamk_f16 v52, v33, 0x36a6, v60
	v_add_f16_e32 v96, v110, v96
	v_add_f16_sdwa v110, v113, v13 dst_sel:DWORD dst_unused:UNUSED_PAD src0_sel:DWORD src1_sel:WORD_1
	v_fma_f16 v113, v56, 0xbbad, -v51
	v_mul_f16_e32 v66, 0x3b47, v49
	v_mul_f16_sdwa v91, v49, v31 dst_sel:DWORD dst_unused:UNUSED_PAD src0_sel:WORD_1 src1_sel:DWORD
	v_mul_f16_e32 v92, 0xb853, v49
	v_add_f16_e32 v61, v32, v67
	v_add_f16_e32 v64, v52, v111
	v_pk_add_f16 v52, v19, v18 neg_lo:[0,1] neg_hi:[0,1]
	v_pk_add_f16 v32, v18, v19
	v_add_f16_e32 v110, v113, v110
	v_fma_f16 v59, v94, 0x36a6, -v66
	v_fmamk_f16 v65, v33, 0x3abb, v91
	v_fma_f16 v67, v94, 0x3abb, -v92
	v_lshrrev_b32_e32 v95, 16, v32
	v_mul_f16_e32 v68, 0xb853, v52
	v_fmamk_f16 v55, v33, 0xb08e, v54
	v_add_f16_e32 v85, v59, v110
	v_add_f16_e32 v65, v65, v58
	;; [unrolled: 1-line block ×3, first 2 shown]
	v_mul_f16_sdwa v58, v52, v30 dst_sel:DWORD dst_unused:UNUSED_PAD src0_sel:WORD_1 src1_sel:DWORD
	v_mul_f16_sdwa v67, v52, v31 dst_sel:DWORD dst_unused:UNUSED_PAD src0_sel:WORD_1 src1_sel:DWORD
	;; [unrolled: 1-line block ×3, first 2 shown]
	v_fma_f16 v88, v95, 0x3abb, -v68
	v_add_f16_e32 v55, v55, v96
	v_mul_f16_e32 v59, 0x3beb, v52
	v_fmamk_f16 v31, v32, 0xb93d, v58
	v_fmamk_f16 v87, v32, 0x3abb, v67
	;; [unrolled: 1-line block ×3, first 2 shown]
	v_add_f16_e32 v88, v88, v85
	v_pk_mul_f16 v85, 0x3abb36a6, v39
	v_fma_f16 v86, v95, 0xb08e, -v59
	v_add_f16_e32 v97, v31, v55
	v_add_f16_e32 v87, v87, v64
	;; [unrolled: 1-line block ×3, first 2 shown]
	v_mul_f16_e32 v96, 0xb482, v52
	v_pk_add_f16 v55, v20, v17 neg_lo:[0,1] neg_hi:[0,1]
	v_pk_mul_f16 v99, 0x36a6b93d, v36
	v_pk_fma_f16 v64, 0xbb47b853, v41, v85 op_sel:[0,0,1] op_sel_hi:[1,1,0]
	v_add_f16_e32 v86, v86, v61
	v_fmac_f16_e32 v34, 0x36a6, v10
	v_fma_f16 v10, v95, 0xbbad, -v96
	v_mul_f16_sdwa v61, v55, v82 dst_sel:DWORD dst_unused:UNUSED_PAD src0_sel:WORD_1 src1_sel:DWORD
	v_pk_fma_f16 v65, 0xba0cbb47, v40, v99 op_sel:[0,0,1] op_sel_hi:[1,1,0]
	v_add_f16_sdwa v82, v64, v13 dst_sel:DWORD dst_unused:UNUSED_PAD src0_sel:WORD_1 src1_sel:DWORD
	v_pk_mul_f16 v104, 0xb08ebbad, v33
	v_pk_add_f16 v31, v17, v20
	v_add_f16_e32 v47, v10, v47
	v_add_f16_e32 v10, v34, v84
	v_add_f16_sdwa v82, v65, v82 dst_sel:DWORD dst_unused:UNUSED_PAD src0_sel:WORD_1 src1_sel:DWORD
	v_pk_fma_f16 v34, 0x3482bbeb, v49, v104 op_sel:[0,0,1] op_sel_hi:[1,1,0]
	v_pk_mul_f16 v105, 0xb93db08e, v32
	v_fmamk_f16 v84, v31, 0xbbad, v61
	v_fmac_f16_e32 v28, 0xb08e, v27
	v_add_f16_e32 v9, v35, v9
	v_add_f16_sdwa v35, v34, v82 dst_sel:DWORD dst_unused:UNUSED_PAD src0_sel:WORD_1 src1_sel:DWORD
	v_pk_fma_f16 v27, 0x3bebba0c, v52, v105 op_sel:[0,0,1] op_sel_hi:[1,1,0]
	v_mul_f16_sdwa v30, v55, v30 dst_sel:DWORD dst_unused:UNUSED_PAD src0_sel:WORD_1 src1_sel:DWORD
	v_add_f16_e32 v84, v84, v97
	v_add_f16_e32 v106, v28, v10
	v_fmac_f16_e32 v24, 0xb93d, v26
	v_add_f16_sdwa v10, v27, v35 dst_sel:DWORD dst_unused:UNUSED_PAD src0_sel:WORD_1 src1_sel:DWORD
	v_fmamk_f16 v35, v31, 0xb93d, v30
	v_lshrrev_b32_e32 v97, 16, v31
	v_mul_f16_e32 v28, 0x3853, v55
	v_add_f16_e32 v25, v25, v9
	v_fmac_f16_e32 v23, 0xbbad, v38
	v_add_f16_e32 v9, v35, v87
	v_add_f16_e32 v35, v24, v106
	v_fma_f16 v87, v97, 0x3abb, -v28
	v_pk_fma_f16 v24, 0xbb47b853, v41, v85 op_sel:[0,0,1] op_sel_hi:[1,1,0] neg_lo:[0,1,0] neg_hi:[0,1,0]
	v_add_f16_e32 v106, v37, v25
	v_mul_f16_e32 v38, 0xba0c, v55
	v_pk_fma_f16 v25, 0xba0cbb47, v40, v99 op_sel:[0,0,1] op_sel_hi:[1,1,0] neg_lo:[0,1,0] neg_hi:[0,1,0]
	v_add_f16_e32 v85, v87, v86
	v_add_f16_sdwa v86, v24, v13 dst_sel:DWORD dst_unused:UNUSED_PAD src0_sel:DWORD src1_sel:WORD_1
	v_add_f16_e32 v23, v23, v35
	v_fma_f16 v35, v97, 0xb93d, -v38
	v_mul_f16_e32 v99, 0x3b47, v55
	v_pk_fma_f16 v37, 0x3482bbeb, v49, v104 op_sel:[0,0,1] op_sel_hi:[1,1,0] neg_lo:[0,1,0] neg_hi:[0,1,0]
	v_add_f16_e32 v87, v25, v86
	v_pk_mul_f16 v82, 0xbbad3abb, v31
	v_add_f16_e32 v12, v12, v106
	v_add_f16_e32 v86, v35, v88
	v_fma_f16 v88, v97, 0x36a6, -v99
	v_pk_fma_f16 v35, 0x3bebba0c, v52, v105 op_sel:[0,0,1] op_sel_hi:[1,1,0] neg_lo:[0,1,0] neg_hi:[0,1,0]
	v_add_f16_e32 v87, v37, v87
	v_mul_f16_sdwa v98, v55, v98 dst_sel:DWORD dst_unused:UNUSED_PAD src0_sel:WORD_1 src1_sel:DWORD
	v_pk_fma_f16 v26, 0x3853b482, v55, v82 op_sel:[0,0,1] op_sel_hi:[1,1,0]
	v_pack_b32_f16 v104, v23, v12
	v_add_f16_e32 v88, v88, v47
	v_pk_fma_f16 v23, 0x3853b482, v55, v82 op_sel:[0,0,1] op_sel_hi:[1,1,0] neg_lo:[0,1,0] neg_hi:[0,1,0]
	v_add_f16_e32 v12, v35, v87
	v_fmamk_f16 v82, v31, 0x36a6, v98
	v_add_co_u32 v47, s2, 0x63, v79
	v_add_co_ci_u32_e64 v87, null, 0, 0, s2
	v_add_f16_sdwa v10, v26, v10 dst_sel:DWORD dst_unused:UNUSED_PAD src0_sel:WORD_1 src1_sel:DWORD
	v_add_f16_e32 v87, v23, v12
	v_add_f16_e32 v12, v82, v103
	v_mul_u32_u24_e32 v82, 11, v47
	ds_write2_b32 v83, v109, v108 offset0:5 offset1:6
	ds_write2_b32 v83, v112, v100 offset1:7
	ds_write2_b32 v83, v102, v101 offset0:8 offset1:9
	ds_write_b32 v83, v104 offset:40
	s_and_saveexec_b32 s2, vcc_lo
	s_cbranch_execz .LBB0_7
; %bb.6:
	v_pk_add_f16 v14, v14, v13
	v_mul_f16_e32 v100, 0x3abb, v39
	v_mul_f16_e32 v105, 0x36a6, v36
	;; [unrolled: 1-line block ×4, first 2 shown]
	v_pk_add_f16 v14, v21, v14
	v_sub_f16_e32 v42, v100, v42
	v_mul_f16_e32 v108, 0xbbad, v56
	v_mul_f16_e32 v56, 0xb08e, v56
	;; [unrolled: 1-line block ×3, first 2 shown]
	v_pk_add_f16 v14, v22, v14
	v_add_f16_e32 v42, v42, v13
	v_sub_f16_e32 v22, v105, v43
	v_bfi_b32 v24, 0xffff, v64, v24
	v_mul_f16_e32 v101, 0x36a6, v53
	v_pk_add_f16 v14, v19, v14
	v_mul_f16_e32 v103, 0xb08e, v53
	v_add_f16_e32 v19, v22, v42
	v_sub_f16_e32 v22, v110, v54
	v_mul_f16_e32 v53, 0xb93d, v53
	v_pk_add_f16 v14, v20, v14
	v_add_f16_e32 v56, v90, v56
	v_mul_f16_e32 v90, 0xbbad, v31
	v_bfi_b32 v20, 0xffff, v65, v25
	v_add_f16_e32 v19, v22, v19
	v_sub_f16_e32 v22, v115, v58
	v_pk_add_f16 v14, v17, v14
	v_pk_add_f16 v17, v24, v13 op_sel:[0,1] op_sel_hi:[1,0]
	v_mul_f16_e32 v102, 0xb08e, v39
	v_mul_f16_e32 v104, 0xb93d, v39
	v_add_f16_e32 v53, v89, v53
	v_bfi_b32 v25, 0xffff, v34, v37
	v_add_f16_e32 v19, v22, v19
	v_sub_f16_e32 v22, v90, v61
	v_pk_add_f16 v14, v18, v14
	v_pk_add_f16 v17, v20, v17
	v_pk_mul_f16 v18, 0xb482, v41 op_sel_hi:[0,1]
	v_add_f16_e32 v44, v44, v101
	v_mul_f16_e32 v107, 0xbbad, v36
	v_mul_f16_e32 v109, 0xb08e, v36
	v_mul_f16_e32 v111, 0xbbad, v94
	v_mul_f16_e32 v113, 0x36a6, v94
	v_mul_f16_e32 v94, 0x3abb, v94
	v_add_f16_sdwa v53, v53, v13 dst_sel:DWORD dst_unused:UNUSED_PAD src0_sel:DWORD src1_sel:WORD_1
	v_sub_f16_e32 v62, v104, v62
	v_add_f16_e32 v50, v50, v103
	v_sub_f16_e32 v46, v102, v46
	v_bfi_b32 v24, 0xffff, v27, v35
	v_add_f16_e32 v19, v22, v19
	v_pk_add_f16 v14, v15, v14
	v_pk_add_f16 v15, v25, v17
	v_pk_fma_f16 v17, 0xbbad, v39, v18 op_sel:[0,0,1] op_sel_hi:[0,1,0] neg_lo:[0,0,1] neg_hi:[0,0,1]
	v_pk_fma_f16 v18, 0xbbad, v39, v18 op_sel:[0,0,1] op_sel_hi:[0,1,0]
	v_pk_mul_f16 v22, 0x3853, v40 op_sel_hi:[0,1]
	v_add_f16_sdwa v44, v44, v13 dst_sel:DWORD dst_unused:UNUSED_PAD src0_sel:DWORD src1_sel:WORD_1
	v_add_f16_e32 v45, v45, v106
	v_mul_f16_e32 v112, 0x36a6, v33
	v_mul_f16_e32 v114, 0x3abb, v33
	;; [unrolled: 1-line block ×5, first 2 shown]
	v_add_f16_e32 v53, v56, v53
	v_add_f16_e32 v56, v92, v94
	;; [unrolled: 1-line block ×3, first 2 shown]
	v_sub_f16_e32 v63, v109, v63
	v_add_f16_sdwa v50, v50, v13 dst_sel:DWORD dst_unused:UNUSED_PAD src0_sel:DWORD src1_sel:WORD_1
	v_add_f16_e32 v51, v51, v108
	v_add_f16_e32 v46, v46, v13
	v_sub_f16_e32 v48, v107, v48
	v_bfi_b32 v20, 0xffff, v26, v23
	v_pk_add_f16 v14, v16, v14
	v_pk_add_f16 v15, v24, v15
	v_bfi_b32 v16, 0xffff, v17, v18
	v_pk_fma_f16 v24, 0x3abb, v36, v22 op_sel:[0,0,1] op_sel_hi:[0,1,0] neg_lo:[0,0,1] neg_hi:[0,0,1]
	v_pk_fma_f16 v22, 0x3abb, v36, v22 op_sel:[0,0,1] op_sel_hi:[0,1,0]
	v_pk_mul_f16 v25, 0xba0c, v49 op_sel_hi:[0,1]
	v_bfi_b32 v17, 0xffff, v18, v17
	v_add_f16_e32 v44, v45, v44
	v_add_f16_e32 v45, v57, v111
	v_mul_f16_e32 v89, 0x3abb, v32
	v_mul_f16_e32 v118, 0xbbad, v32
	;; [unrolled: 1-line block ×3, first 2 shown]
	v_add_f16_e32 v53, v56, v53
	v_add_f16_e32 v56, v96, v95
	;; [unrolled: 1-line block ×3, first 2 shown]
	v_sub_f16_e32 v63, v114, v91
	v_add_f16_e32 v50, v51, v50
	v_add_f16_e32 v51, v66, v113
	;; [unrolled: 1-line block ×3, first 2 shown]
	v_sub_f16_e32 v48, v112, v60
	v_pk_add_f16 v15, v20, v15
	v_pk_add_f16 v16, v16, v13
	v_bfi_b32 v20, 0xffff, v24, v22
	v_pk_fma_f16 v18, 0xb93d, v33, v25 op_sel:[0,0,1] op_sel_hi:[0,1,0] neg_lo:[0,0,1] neg_hi:[0,0,1]
	v_pk_fma_f16 v25, 0xb93d, v33, v25 op_sel:[0,0,1] op_sel_hi:[0,1,0]
	v_pk_mul_f16 v26, 0x3b47, v52 op_sel_hi:[0,1]
	v_pk_add_f16 v13, v17, v13
	v_bfi_b32 v17, 0xffff, v22, v24
	v_mul_f16_e32 v104, 0x3abb, v97
	v_add_f16_e32 v21, v45, v44
	v_add_f16_e32 v44, v59, v116
	v_mul_f16_e32 v119, 0xb93d, v31
	v_mul_f16_e32 v92, 0xb93d, v97
	;; [unrolled: 1-line block ×3, first 2 shown]
	v_add_f16_e32 v53, v56, v53
	v_add_f16_e32 v56, v99, v94
	;; [unrolled: 1-line block ×3, first 2 shown]
	v_sub_f16_e32 v63, v118, v93
	v_add_f16_e32 v50, v51, v50
	v_add_f16_e32 v51, v68, v117
	;; [unrolled: 1-line block ×3, first 2 shown]
	v_sub_f16_e32 v48, v89, v67
	v_pk_add_f16 v16, v20, v16
	v_bfi_b32 v20, 0xffff, v18, v25
	v_pk_fma_f16 v22, 0x36a6, v32, v26 op_sel:[0,0,1] op_sel_hi:[0,1,0] neg_lo:[0,0,1] neg_hi:[0,0,1]
	v_pk_fma_f16 v24, 0x36a6, v32, v26 op_sel:[0,0,1] op_sel_hi:[0,1,0]
	v_pk_mul_f16 v26, 0xbbeb, v55 op_sel_hi:[0,1]
	v_pk_add_f16 v13, v17, v13
	v_bfi_b32 v17, 0xffff, v25, v18
	v_add_f16_e32 v21, v44, v21
	v_add_f16_e32 v28, v28, v104
	;; [unrolled: 1-line block ×4, first 2 shown]
	v_sub_f16_e32 v62, v91, v98
	v_add_f16_e32 v50, v51, v50
	v_add_f16_e32 v38, v38, v92
	;; [unrolled: 1-line block ×3, first 2 shown]
	v_sub_f16_e32 v30, v119, v30
	v_pk_add_f16 v16, v20, v16
	v_bfi_b32 v18, 0xffff, v22, v24
	v_pk_fma_f16 v20, 0xb08e, v31, v26 op_sel:[0,0,1] op_sel_hi:[0,1,0] neg_lo:[0,0,1] neg_hi:[0,0,1]
	v_pk_fma_f16 v25, 0xb08e, v31, v26 op_sel:[0,0,1] op_sel_hi:[0,1,0]
	v_pk_add_f16 v13, v17, v13
	v_bfi_b32 v17, 0xffff, v24, v22
	v_add_f16_e32 v21, v28, v21
	v_lshlrev_b32_e32 v23, 2, v82
	v_pk_add_f16 v14, v29, v14
	v_add_f16_e32 v56, v62, v56
	v_add_f16_e32 v38, v38, v50
	;; [unrolled: 1-line block ×3, first 2 shown]
	v_pk_add_f16 v16, v18, v16
	v_bfi_b32 v18, 0xffff, v20, v25
	v_pk_add_f16 v13, v17, v13
	v_bfi_b32 v17, 0xffff, v25, v20
	ds_write_b32 v23, v14
	v_alignbit_b32 v14, v21, v15, 16
	v_pack_b32_f16 v15, v19, v15
	v_pack_b32_f16 v19, v56, v53
	;; [unrolled: 1-line block ×3, first 2 shown]
	v_pk_add_f16 v16, v18, v16
	v_pk_add_f16 v13, v17, v13
	v_perm_b32 v17, v86, v9, 0x5040100
	v_perm_b32 v18, v88, v12, 0x5040100
	;; [unrolled: 1-line block ×4, first 2 shown]
	ds_write2_b32 v23, v15, v14 offset0:1 offset1:2
	ds_write2_b32 v23, v20, v19 offset0:3 offset1:4
	;; [unrolled: 1-line block ×5, first 2 shown]
.LBB0_7:
	s_or_b32 exec_lo, exec_lo, s2
	v_mov_b32_e32 v17, 0xba2f
	v_add_nc_u32_e32 v38, 0x1ef, v79
	v_and_b32_e32 v40, 0xff, v79
	v_and_b32_e32 v41, 0xff, v47
	v_add_nc_u32_e32 v37, 0x18c, v79
	v_add_co_u32 v48, null, 0xc6, v79
	v_mul_u32_u24_sdwa v14, v38, v17 dst_sel:DWORD dst_unused:UNUSED_PAD src0_sel:WORD_0 src1_sel:DWORD
	v_mul_lo_u16 v15, 0x75, v41
	v_mul_u32_u24_sdwa v13, v37, v17 dst_sel:DWORD dst_unused:UNUSED_PAD src0_sel:WORD_0 src1_sel:DWORD
	v_add_nc_u32_e32 v39, 0x129, v79
	s_waitcnt lgkmcnt(0)
	v_lshrrev_b32_e32 v57, 19, v14
	v_lshrrev_b16 v19, 8, v15
	v_lshrrev_b32_e32 v53, 19, v13
	s_barrier
	buffer_gl0_inv
	v_mul_lo_u16 v14, v57, 11
	v_sub_nc_u16 v21, v47, v19
	v_mul_lo_u16 v13, v53, 11
	v_add_nc_u32_e32 v62, 0x800, v69
	v_add_nc_u32_e32 v66, 0x1200, v69
	v_sub_nc_u16 v89, v38, v14
	v_mul_lo_u16 v14, 0x75, v40
	v_lshrrev_b16 v21, 1, v21
	v_sub_nc_u16 v58, v37, v13
	v_add_nc_u32_e32 v65, 0x200, v69
	v_lshlrev_b16 v16, 1, v89
	v_lshrrev_b16 v18, 8, v14
	v_and_b32_e32 v21, 0x7f, v21
	v_lshlrev_b16 v13, 1, v58
	v_add_nc_u32_e32 v64, 0xc00, v69
	v_lshlrev_b32_sdwa v14, v11, v16 dst_sel:DWORD dst_unused:UNUSED_PAD src0_sel:DWORD src1_sel:WORD_0
	v_sub_nc_u16 v20, v79, v18
	v_add_nc_u16 v19, v21, v19
	v_lshlrev_b32_sdwa v13, v11, v13 dst_sel:DWORD dst_unused:UNUSED_PAD src0_sel:DWORD src1_sel:WORD_0
	v_add_nc_u32_e32 v67, 0x1400, v69
	v_add_nc_u32_e32 v61, 0x400, v69
	v_lshrrev_b16 v20, 1, v20
	v_lshrrev_b16 v94, 3, v19
	global_load_dwordx2 v[15:16], v13, s[0:1]
	v_add_nc_u32_e32 v63, 0xe00, v69
	v_add_nc_u32_e32 v68, 0x1800, v69
	v_and_b32_e32 v20, 0x7f, v20
	v_mov_b32_e32 v96, 33
	v_mov_b32_e32 v42, 0xf83f
	v_mul_lo_u16 v40, 0xf9, v40
	v_mul_lo_u16 v41, 0xf9, v41
	v_add_nc_u16 v18, v20, v18
	v_mul_u32_u24_sdwa v121, v94, v96 dst_sel:DWORD dst_unused:UNUSED_PAD src0_sel:WORD_0 src1_sel:DWORD
	v_mul_u32_u24_sdwa v43, v48, v42 dst_sel:DWORD dst_unused:UNUSED_PAD src0_sel:WORD_0 src1_sel:DWORD
	;; [unrolled: 1-line block ×4, first 2 shown]
	v_lshrrev_b16 v93, 3, v18
	v_mul_u32_u24_sdwa v18, v48, v17 dst_sel:DWORD dst_unused:UNUSED_PAD src0_sel:WORD_0 src1_sel:DWORD
	v_mul_u32_u24_sdwa v17, v39, v17 dst_sel:DWORD dst_unused:UNUSED_PAD src0_sel:WORD_0 src1_sel:DWORD
	;; [unrolled: 1-line block ×3, first 2 shown]
	v_lshrrev_b16 v45, 13, v40
	v_mul_lo_u16 v19, v93, 11
	v_lshrrev_b32_e32 v90, 19, v18
	v_lshrrev_b32_e32 v91, 19, v17
	v_mul_lo_u16 v18, v94, 11
	v_mul_u32_u24_sdwa v93, v93, v96 dst_sel:DWORD dst_unused:UNUSED_PAD src0_sel:WORD_0 src1_sel:DWORD
	v_sub_nc_u16 v19, v79, v19
	v_mul_lo_u16 v17, v90, 11
	v_lshrrev_b16 v44, 13, v41
	v_sub_nc_u16 v18, v47, v18
	v_lshrrev_b32_e32 v40, 21, v43
	v_and_b32_e32 v97, 0xff, v19
	v_sub_nc_u16 v92, v48, v17
	v_mul_lo_u16 v19, v91, 11
	v_and_b32_e32 v98, 0xff, v18
	v_lshrrev_b32_e32 v41, 21, v46
	v_lshlrev_b32_e32 v17, 3, v97
	v_lshlrev_b16 v18, 1, v92
	v_sub_nc_u16 v95, v39, v19
	v_lshlrev_b32_e32 v19, 3, v98
	v_add_lshl_u32 v94, v93, v97, 2
	s_clause 0x1
	global_load_dwordx2 v[23:24], v17, s[0:1]
	global_load_dwordx2 v[13:14], v14, s[0:1]
	v_lshlrev_b16 v17, 1, v95
	global_load_dwordx2 v[21:22], v19, s[0:1]
	v_lshlrev_b32_sdwa v18, v11, v18 dst_sel:DWORD dst_unused:UNUSED_PAD src0_sel:DWORD src1_sel:WORD_0
	v_add_lshl_u32 v93, v121, v98, 2
	v_lshrrev_b32_e32 v42, 21, v54
	v_lshlrev_b32_sdwa v17, v11, v17 dst_sel:DWORD dst_unused:UNUSED_PAD src0_sel:DWORD src1_sel:WORD_0
	s_clause 0x1
	global_load_dwordx2 v[19:20], v18, s[0:1]
	global_load_dwordx2 v[17:18], v17, s[0:1]
	ds_read2_b32 v[25:26], v69 offset1:99
	ds_read2_b32 v[27:28], v62 offset0:82 offset1:181
	ds_read2_b32 v[29:30], v66 offset0:36 offset1:135
	;; [unrolled: 1-line block ×8, first 2 shown]
	v_lshrrev_b32_e32 v43, 21, v55
	v_mul_lo_u16 v46, v45, 33
	v_mul_lo_u16 v54, v44, 33
	;; [unrolled: 1-line block ×6, first 2 shown]
	v_sub_nc_u16 v103, v79, v46
	v_sub_nc_u16 v104, v47, v54
	;; [unrolled: 1-line block ×6, first 2 shown]
	s_waitcnt lgkmcnt(7)
	v_lshrrev_b32_e32 v99, 16, v27
	s_waitcnt lgkmcnt(6)
	v_lshrrev_b32_e32 v100, 16, v29
	v_lshrrev_b32_e32 v105, 16, v28
	;; [unrolled: 1-line block ×3, first 2 shown]
	s_waitcnt lgkmcnt(2)
	v_lshrrev_b32_e32 v113, 16, v49
	s_waitcnt lgkmcnt(1)
	v_lshrrev_b32_e32 v114, 16, v51
	v_lshrrev_b32_e32 v117, 16, v52
	s_waitcnt lgkmcnt(0)
	v_lshrrev_b32_e32 v115, 16, v59
	v_lshrrev_b32_e32 v118, 16, v60
	;; [unrolled: 1-line block ×11, first 2 shown]
	v_mad_u16 v91, v91, 33, v95
	v_lshlrev_b16 v95, 3, v46
	v_mad_u16 v53, v53, 33, v58
	v_and_b32_e32 v58, 0xff, v103
	v_lshlrev_b16 v103, 3, v54
	v_mad_u16 v90, v90, 33, v92
	v_and_b32_e32 v95, 0xffff, v95
	v_mad_u16 v89, v57, 33, v89
	v_and_b32_e32 v57, 0xff, v104
	v_lshlrev_b16 v104, 3, v55
	v_and_b32_e32 v103, 0xffff, v103
	v_lshlrev_b16 v119, 3, v56
	v_add_co_u32 v95, s2, s0, v95
	v_lshlrev_b32_sdwa v92, v11, v90 dst_sel:DWORD dst_unused:UNUSED_PAD src0_sel:DWORD src1_sel:WORD_0
	v_lshlrev_b32_sdwa v91, v11, v91 dst_sel:DWORD dst_unused:UNUSED_PAD src0_sel:DWORD src1_sel:WORD_0
	;; [unrolled: 1-line block ×4, first 2 shown]
	v_and_b32_e32 v104, 0xffff, v104
	v_add_co_ci_u32_e64 v96, null, s1, 0, s2
	s_waitcnt vmcnt(0)
	s_barrier
	buffer_gl0_inv
	v_lshlrev_b32_e32 v53, 3, v58
	v_and_b32_e32 v119, 0xffff, v119
	v_lshlrev_b32_e32 v120, 3, v57
	v_mad_u16 v46, 0x63, v40, v46
	v_mad_u16 v54, 0x63, v41, v54
	;; [unrolled: 1-line block ×4, first 2 shown]
	v_lshlrev_b32_e32 v47, 3, v47
	v_mul_f16_sdwa v97, v114, v15 dst_sel:DWORD dst_unused:UNUSED_PAD src0_sel:DWORD src1_sel:WORD_1
	v_mul_f16_sdwa v98, v51, v15 dst_sel:DWORD dst_unused:UNUSED_PAD src0_sel:DWORD src1_sel:WORD_1
	;; [unrolled: 1-line block ×4, first 2 shown]
	v_fma_f16 v51, v51, v15, -v97
	v_fmac_f16_e32 v98, v114, v15
	v_fmac_f16_e32 v122, v115, v16
	v_fma_f16 v59, v59, v16, -v121
	v_add_f16_e32 v97, v49, v51
	v_sub_f16_e32 v115, v98, v122
	v_add_f16_e32 v114, v51, v59
	v_sub_f16_e32 v51, v51, v59
	v_add_f16_e32 v59, v97, v59
	v_fma_f16 v49, -0.5, v114, v49
	v_fmamk_f16 v114, v115, 0x3aee, v49
	v_fmac_f16_e32 v49, 0xbaee, v115
	v_mul_f16_sdwa v123, v117, v13 dst_sel:DWORD dst_unused:UNUSED_PAD src0_sel:DWORD src1_sel:WORD_1
	v_mul_f16_sdwa v124, v52, v13 dst_sel:DWORD dst_unused:UNUSED_PAD src0_sel:DWORD src1_sel:WORD_1
	;; [unrolled: 1-line block ×4, first 2 shown]
	v_fma_f16 v52, v52, v13, -v123
	v_fmac_f16_e32 v124, v117, v13
	v_fmac_f16_e32 v126, v118, v14
	v_fma_f16 v60, v60, v14, -v125
	v_add_f16_e32 v117, v113, v98
	v_add_f16_e32 v98, v98, v122
	;; [unrolled: 1-line block ×3, first 2 shown]
	v_sub_f16_e32 v123, v124, v126
	v_add_f16_e32 v125, v116, v124
	v_add_f16_e32 v124, v124, v126
	;; [unrolled: 1-line block ×3, first 2 shown]
	v_sub_f16_e32 v52, v52, v60
	v_add_f16_e32 v97, v117, v122
	v_fmac_f16_e32 v113, -0.5, v98
	v_add_f16_e32 v60, v118, v60
	v_add_f16_e32 v98, v125, v126
	v_fmac_f16_e32 v116, -0.5, v124
	v_fmac_f16_e32 v50, -0.5, v121
	v_mul_f16_sdwa v118, v29, v24 dst_sel:DWORD dst_unused:UNUSED_PAD src0_sel:DWORD src1_sel:WORD_1
	v_fmamk_f16 v115, v51, 0xbaee, v113
	v_fmac_f16_e32 v113, 0x3aee, v51
	v_fmamk_f16 v117, v52, 0xbaee, v116
	v_fmac_f16_e32 v116, 0x3aee, v52
	v_pack_b32_f16 v52, v59, v97
	v_pack_b32_f16 v59, v60, v98
	v_mul_f16_sdwa v60, v99, v23 dst_sel:DWORD dst_unused:UNUSED_PAD src0_sel:DWORD src1_sel:WORD_1
	v_mul_f16_sdwa v97, v27, v23 dst_sel:DWORD dst_unused:UNUSED_PAD src0_sel:DWORD src1_sel:WORD_1
	;; [unrolled: 1-line block ×3, first 2 shown]
	v_fmamk_f16 v51, v123, 0x3aee, v50
	v_fmac_f16_e32 v50, 0xbaee, v123
	v_mul_f16_sdwa v121, v105, v21 dst_sel:DWORD dst_unused:UNUSED_PAD src0_sel:DWORD src1_sel:WORD_1
	v_mul_f16_sdwa v122, v28, v21 dst_sel:DWORD dst_unused:UNUSED_PAD src0_sel:DWORD src1_sel:WORD_1
	;; [unrolled: 1-line block ×12, first 2 shown]
	v_fma_f16 v27, v27, v23, -v60
	v_fmac_f16_e32 v97, v99, v23
	v_fma_f16 v29, v29, v24, -v98
	v_fmac_f16_e32 v118, v100, v24
	v_fma_f16 v28, v28, v21, -v121
	v_fmac_f16_e32 v122, v105, v21
	v_fma_f16 v30, v30, v22, -v123
	v_fmac_f16_e32 v124, v106, v22
	v_fma_f16 v33, v33, v19, -v125
	v_fmac_f16_e32 v126, v108, v19
	v_fma_f16 v35, v35, v20, -v127
	v_fmac_f16_e32 v128, v109, v20
	v_fma_f16 v34, v34, v17, -v129
	v_fmac_f16_e32 v130, v111, v17
	v_fma_f16 v36, v36, v18, -v131
	v_fmac_f16_e32 v132, v112, v18
	v_add_f16_e32 v98, v27, v29
	v_sub_f16_e32 v99, v97, v118
	v_add_f16_e32 v100, v101, v97
	v_add_f16_e32 v97, v97, v118
	;; [unrolled: 1-line block ×4, first 2 shown]
	v_pack_b32_f16 v49, v49, v113
	v_pack_b32_f16 v51, v51, v117
	v_add_f16_e32 v113, v33, v35
	v_add_f16_e32 v117, v126, v128
	v_pack_b32_f16 v114, v114, v115
	v_pack_b32_f16 v50, v50, v116
	v_add_f16_e32 v60, v25, v27
	v_sub_f16_e32 v27, v27, v29
	v_add_f16_e32 v105, v26, v28
	v_sub_f16_e32 v108, v122, v124
	v_add_f16_e32 v109, v102, v122
	v_add_f16_e32 v112, v31, v33
	v_sub_f16_e32 v115, v126, v128
	v_add_f16_e32 v116, v107, v126
	v_add_f16_e32 v121, v32, v34
	;; [unrolled: 1-line block ×5, first 2 shown]
	v_fma_f16 v25, -0.5, v98, v25
	v_fmac_f16_e32 v101, -0.5, v97
	v_sub_f16_e32 v28, v28, v30
	v_fmac_f16_e32 v26, -0.5, v106
	v_fmac_f16_e32 v102, -0.5, v111
	v_sub_f16_e32 v33, v33, v35
	v_fma_f16 v31, -0.5, v113, v31
	v_fmac_f16_e32 v107, -0.5, v117
	v_sub_f16_e32 v123, v130, v132
	v_sub_f16_e32 v34, v34, v36
	v_add_f16_e32 v29, v60, v29
	v_add_f16_e32 v60, v100, v118
	;; [unrolled: 1-line block ×6, first 2 shown]
	v_fmac_f16_e32 v32, -0.5, v122
	v_add_f16_e32 v100, v125, v132
	v_fmac_f16_e32 v110, -0.5, v126
	v_fmamk_f16 v105, v99, 0x3aee, v25
	v_fmac_f16_e32 v25, 0xbaee, v99
	v_fmamk_f16 v99, v27, 0xbaee, v101
	v_fmac_f16_e32 v101, 0x3aee, v27
	v_add_f16_e32 v97, v109, v124
	v_fmamk_f16 v27, v108, 0x3aee, v26
	v_fmamk_f16 v106, v28, 0xbaee, v102
	v_fmac_f16_e32 v26, 0xbaee, v108
	v_fmac_f16_e32 v102, 0x3aee, v28
	v_fmamk_f16 v28, v115, 0x3aee, v31
	v_fmamk_f16 v108, v33, 0xbaee, v107
	v_fmac_f16_e32 v31, 0xbaee, v115
	v_fmac_f16_e32 v107, 0x3aee, v33
	v_fmamk_f16 v33, v123, 0x3aee, v32
	v_fmac_f16_e32 v32, 0xbaee, v123
	v_fmamk_f16 v109, v34, 0xbaee, v110
	v_fmac_f16_e32 v110, 0x3aee, v34
	v_pack_b32_f16 v29, v29, v60
	v_pack_b32_f16 v34, v35, v98
	;; [unrolled: 1-line block ×12, first 2 shown]
	ds_write2_b32 v94, v29, v36 offset1:11
	ds_write_b32 v94, v25 offset:88
	ds_write2_b32 v93, v30, v27 offset1:11
	ds_write_b32 v93, v26 offset:88
	;; [unrolled: 2-line block ×6, first 2 shown]
	v_add_co_u32 v25, s2, s0, v103
	v_add_co_ci_u32_e64 v26, null, s1, 0, s2
	v_add_co_u32 v27, s2, s0, v104
	s_waitcnt lgkmcnt(0)
	s_barrier
	buffer_gl0_inv
	s_clause 0x3
	global_load_dwordx2 v[35:36], v53, s[0:1] offset:88
	global_load_dwordx2 v[33:34], v120, s[0:1] offset:88
	global_load_dwordx2 v[31:32], v[95:96], off offset:88
	global_load_dwordx2 v[29:30], v[25:26], off offset:88
	v_add_co_ci_u32_e64 v28, null, s1, 0, s2
	v_add_co_u32 v25, s2, s0, v119
	v_add_co_ci_u32_e64 v26, null, s1, 0, s2
	s_clause 0x1
	global_load_dwordx2 v[27:28], v[27:28], off offset:88
	global_load_dwordx2 v[25:26], v[25:26], off offset:88
	v_mov_b32_e32 v49, 0xa57f
	v_mov_b32_e32 v50, 0x63
	v_lshlrev_b32_sdwa v99, v11, v46 dst_sel:DWORD dst_unused:UNUSED_PAD src0_sel:DWORD src1_sel:WORD_0
	v_lshlrev_b32_sdwa v95, v11, v54 dst_sel:DWORD dst_unused:UNUSED_PAD src0_sel:DWORD src1_sel:WORD_0
	;; [unrolled: 1-line block ×3, first 2 shown]
	v_mul_u32_u24_sdwa v51, v48, v49 dst_sel:DWORD dst_unused:UNUSED_PAD src0_sel:WORD_0 src1_sel:DWORD
	v_mul_u32_u24_sdwa v52, v39, v49 dst_sel:DWORD dst_unused:UNUSED_PAD src0_sel:WORD_0 src1_sel:DWORD
	;; [unrolled: 1-line block ×5, first 2 shown]
	v_lshrrev_b32_e32 v51, 22, v51
	v_lshrrev_b32_e32 v52, 22, v52
	;; [unrolled: 1-line block ×4, first 2 shown]
	v_mul_u32_u24_sdwa v44, v44, v50 dst_sel:DWORD dst_unused:UNUSED_PAD src0_sel:WORD_0 src1_sel:DWORD
	v_mul_lo_u16 v51, 0x63, v51
	v_mul_lo_u16 v52, 0x63, v52
	;; [unrolled: 1-line block ×4, first 2 shown]
	v_add_lshl_u32 v100, v45, v58, 2
	v_sub_nc_u16 v51, v48, v51
	v_sub_nc_u16 v52, v39, v52
	;; [unrolled: 1-line block ×4, first 2 shown]
	ds_read2_b32 v[37:38], v69 offset1:99
	ds_read2_b32 v[39:40], v62 offset0:82 offset1:181
	ds_read2_b32 v[41:42], v66 offset0:36 offset1:135
	v_lshlrev_b16 v59, 3, v51
	v_add_lshl_u32 v98, v44, v57, 2
	ds_read2_b32 v[43:44], v65 offset0:70 offset1:169
	ds_read2_b32 v[45:46], v64 offset0:24 offset1:123
	;; [unrolled: 1-line block ×3, first 2 shown]
	v_lshlrev_b32_sdwa v97, v11, v56 dst_sel:DWORD dst_unused:UNUSED_PAD src0_sel:DWORD src1_sel:WORD_0
	v_lshlrev_b16 v60, 3, v52
	v_and_b32_e32 v105, 0xffff, v59
	ds_read2_b32 v[56:57], v61 offset0:140 offset1:239
	ds_read2_b32 v[58:59], v63 offset0:94 offset1:193
	;; [unrolled: 1-line block ×3, first 2 shown]
	v_lshlrev_b16 v103, 3, v53
	s_waitcnt vmcnt(0) lgkmcnt(0)
	v_and_b32_e32 v60, 0xffff, v60
	s_barrier
	buffer_gl0_inv
	v_lshlrev_b16 v104, 3, v50
	v_lshlrev_b32_e32 v49, 3, v79
	v_and_b32_e32 v103, 0xffff, v103
	v_lshrrev_b32_e32 v106, 16, v37
	v_lshrrev_b32_e32 v107, 16, v39
	;; [unrolled: 1-line block ×18, first 2 shown]
	v_and_b32_e32 v104, 0xffff, v104
	v_mul_f16_sdwa v124, v107, v35 dst_sel:DWORD dst_unused:UNUSED_PAD src0_sel:DWORD src1_sel:WORD_1
	v_mul_f16_sdwa v125, v39, v35 dst_sel:DWORD dst_unused:UNUSED_PAD src0_sel:DWORD src1_sel:WORD_1
	v_mul_f16_sdwa v126, v108, v36 dst_sel:DWORD dst_unused:UNUSED_PAD src0_sel:DWORD src1_sel:WORD_1
	v_mul_f16_sdwa v127, v41, v36 dst_sel:DWORD dst_unused:UNUSED_PAD src0_sel:DWORD src1_sel:WORD_1
	v_mul_f16_sdwa v128, v110, v33 dst_sel:DWORD dst_unused:UNUSED_PAD src0_sel:DWORD src1_sel:WORD_1
	v_mul_f16_sdwa v129, v40, v33 dst_sel:DWORD dst_unused:UNUSED_PAD src0_sel:DWORD src1_sel:WORD_1
	v_mul_f16_sdwa v130, v111, v34 dst_sel:DWORD dst_unused:UNUSED_PAD src0_sel:DWORD src1_sel:WORD_1
	v_mul_f16_sdwa v131, v42, v34 dst_sel:DWORD dst_unused:UNUSED_PAD src0_sel:DWORD src1_sel:WORD_1
	v_mul_f16_sdwa v132, v113, v31 dst_sel:DWORD dst_unused:UNUSED_PAD src0_sel:DWORD src1_sel:WORD_1
	v_mul_f16_sdwa v133, v45, v31 dst_sel:DWORD dst_unused:UNUSED_PAD src0_sel:DWORD src1_sel:WORD_1
	v_mul_f16_sdwa v134, v114, v32 dst_sel:DWORD dst_unused:UNUSED_PAD src0_sel:DWORD src1_sel:WORD_1
	v_mul_f16_sdwa v135, v54, v32 dst_sel:DWORD dst_unused:UNUSED_PAD src0_sel:DWORD src1_sel:WORD_1
	v_mul_f16_sdwa v136, v116, v29 dst_sel:DWORD dst_unused:UNUSED_PAD src0_sel:DWORD src1_sel:WORD_1
	v_mul_f16_sdwa v137, v46, v29 dst_sel:DWORD dst_unused:UNUSED_PAD src0_sel:DWORD src1_sel:WORD_1
	v_mul_f16_sdwa v138, v117, v30 dst_sel:DWORD dst_unused:UNUSED_PAD src0_sel:DWORD src1_sel:WORD_1
	v_mul_f16_sdwa v139, v55, v30 dst_sel:DWORD dst_unused:UNUSED_PAD src0_sel:DWORD src1_sel:WORD_1
	v_mul_f16_sdwa v140, v119, v27 dst_sel:DWORD dst_unused:UNUSED_PAD src0_sel:DWORD src1_sel:WORD_1
	v_mul_f16_sdwa v141, v58, v27 dst_sel:DWORD dst_unused:UNUSED_PAD src0_sel:DWORD src1_sel:WORD_1
	v_mul_f16_sdwa v142, v120, v28 dst_sel:DWORD dst_unused:UNUSED_PAD src0_sel:DWORD src1_sel:WORD_1
	v_mul_f16_sdwa v143, v101, v28 dst_sel:DWORD dst_unused:UNUSED_PAD src0_sel:DWORD src1_sel:WORD_1
	v_mul_f16_sdwa v144, v122, v25 dst_sel:DWORD dst_unused:UNUSED_PAD src0_sel:DWORD src1_sel:WORD_1
	v_mul_f16_sdwa v145, v59, v25 dst_sel:DWORD dst_unused:UNUSED_PAD src0_sel:DWORD src1_sel:WORD_1
	v_mul_f16_sdwa v146, v123, v26 dst_sel:DWORD dst_unused:UNUSED_PAD src0_sel:DWORD src1_sel:WORD_1
	v_mul_f16_sdwa v147, v102, v26 dst_sel:DWORD dst_unused:UNUSED_PAD src0_sel:DWORD src1_sel:WORD_1
	v_fma_f16 v39, v39, v35, -v124
	v_fmac_f16_e32 v125, v107, v35
	v_fma_f16 v41, v41, v36, -v126
	v_fmac_f16_e32 v127, v108, v36
	;; [unrolled: 2-line block ×12, first 2 shown]
	v_add_f16_e32 v108, v39, v41
	v_add_f16_e32 v113, v125, v127
	v_add_f16_e32 v116, v40, v42
	v_add_f16_e32 v120, v129, v131
	v_add_f16_e32 v123, v45, v54
	v_add_f16_e32 v126, v133, v135
	v_add_f16_e32 v107, v37, v39
	v_sub_f16_e32 v110, v125, v127
	v_add_f16_e32 v111, v106, v125
	v_sub_f16_e32 v39, v39, v41
	v_add_f16_e32 v114, v38, v40
	;; [unrolled: 2-line block ×4, first 2 shown]
	v_add_f16_e32 v129, v46, v55
	v_sub_f16_e32 v130, v137, v139
	v_add_f16_e32 v132, v115, v137
	v_add_f16_e32 v133, v137, v139
	;; [unrolled: 1-line block ×4, first 2 shown]
	v_sub_f16_e32 v137, v141, v143
	v_add_f16_e32 v138, v118, v141
	v_add_f16_e32 v140, v141, v143
	;; [unrolled: 1-line block ×4, first 2 shown]
	v_sub_f16_e32 v144, v145, v147
	v_add_f16_e32 v146, v121, v145
	v_add_f16_e32 v145, v145, v147
	v_fma_f16 v37, -0.5, v108, v37
	v_fmac_f16_e32 v106, -0.5, v113
	v_sub_f16_e32 v40, v40, v42
	v_fmac_f16_e32 v38, -0.5, v116
	v_fmac_f16_e32 v109, -0.5, v120
	v_add_f16_e32 v122, v43, v45
	v_sub_f16_e32 v45, v45, v54
	v_fma_f16 v43, -0.5, v123, v43
	v_fmac_f16_e32 v112, -0.5, v126
	v_add_f16_e32 v128, v44, v46
	v_sub_f16_e32 v46, v46, v55
	v_sub_f16_e32 v58, v58, v101
	;; [unrolled: 1-line block ×3, first 2 shown]
	v_add_f16_e32 v41, v107, v41
	v_add_f16_e32 v107, v111, v127
	;; [unrolled: 1-line block ×4, first 2 shown]
	v_fmac_f16_e32 v44, -0.5, v129
	v_fmac_f16_e32 v115, -0.5, v133
	v_add_f16_e32 v101, v134, v101
	v_fma_f16 v56, -0.5, v136, v56
	v_add_f16_e32 v114, v138, v143
	v_fmac_f16_e32 v118, -0.5, v140
	v_add_f16_e32 v102, v141, v102
	v_fmac_f16_e32 v57, -0.5, v142
	;; [unrolled: 2-line block ×3, first 2 shown]
	v_fmamk_f16 v119, v110, 0x3aee, v37
	v_fmac_f16_e32 v37, 0xbaee, v110
	v_fmamk_f16 v110, v39, 0xbaee, v106
	v_fmac_f16_e32 v106, 0x3aee, v39
	;; [unrolled: 2-line block ×4, first 2 shown]
	v_add_f16_e32 v54, v122, v54
	v_add_f16_e32 v111, v125, v135
	v_fmamk_f16 v40, v124, 0x3aee, v43
	v_fmamk_f16 v120, v45, 0xbaee, v112
	v_add_f16_e32 v55, v128, v55
	v_add_f16_e32 v113, v132, v139
	v_fmac_f16_e32 v43, 0xbaee, v124
	v_fmac_f16_e32 v112, 0x3aee, v45
	v_fmamk_f16 v45, v130, 0x3aee, v44
	v_fmac_f16_e32 v44, 0xbaee, v130
	v_fmamk_f16 v122, v46, 0xbaee, v115
	;; [unrolled: 2-line block ×6, first 2 shown]
	v_fmac_f16_e32 v121, 0x3aee, v59
	v_pack_b32_f16 v41, v41, v107
	v_pack_b32_f16 v59, v101, v114
	;; [unrolled: 1-line block ×18, first 2 shown]
	ds_write2_b32 v100, v41, v102 offset1:33
	ds_write_b32 v100, v37 offset:264
	ds_write2_b32 v98, v42, v39 offset1:33
	ds_write_b32 v98, v38 offset:264
	;; [unrolled: 2-line block ×6, first 2 shown]
	v_add_co_u32 v37, s2, s0, v105
	v_add_co_ci_u32_e64 v38, null, s1, 0, s2
	v_add_co_u32 v39, s2, s0, v60
	v_add_co_ci_u32_e64 v40, null, s1, 0, s2
	s_waitcnt lgkmcnt(0)
	s_barrier
	buffer_gl0_inv
	s_clause 0x2
	global_load_dwordx2 v[45:46], v49, s[0:1] offset:352
	global_load_dwordx2 v[43:44], v[37:38], off offset:352
	global_load_dwordx2 v[41:42], v[39:40], off offset:352
	v_add_co_u32 v37, s2, s0, v103
	v_add_co_ci_u32_e64 v38, null, s1, 0, s2
	v_add_co_u32 v54, s2, s0, v104
	v_add_co_ci_u32_e64 v55, null, s1, 0, s2
	s_clause 0x1
	global_load_dwordx2 v[39:40], v[37:38], off offset:352
	global_load_dwordx2 v[37:38], v[54:55], off offset:352
	ds_read2_b32 v[54:55], v69 offset1:99
	ds_read2_b32 v[56:57], v62 offset0:82 offset1:181
	ds_read2_b32 v[58:59], v66 offset0:36 offset1:135
	v_lshlrev_b32_sdwa v104, v11, v51 dst_sel:DWORD dst_unused:UNUSED_PAD src0_sel:DWORD src1_sel:WORD_0
	v_lshlrev_b32_sdwa v102, v11, v52 dst_sel:DWORD dst_unused:UNUSED_PAD src0_sel:DWORD src1_sel:WORD_0
	ds_read2_b32 v[51:52], v65 offset0:70 offset1:169
	ds_read2_b32 v[105:106], v64 offset0:24 offset1:123
	ds_read2_b32 v[107:108], v67 offset0:106 offset1:205
	ds_read2_b32 v[109:110], v61 offset0:140 offset1:239
	ds_read2_b32 v[111:112], v63 offset0:94 offset1:193
	ds_read2_b32 v[113:114], v68 offset0:48 offset1:147
	v_lshlrev_b32_sdwa v101, v11, v53 dst_sel:DWORD dst_unused:UNUSED_PAD src0_sel:DWORD src1_sel:WORD_0
	v_lshlrev_b32_sdwa v103, v11, v50 dst_sel:DWORD dst_unused:UNUSED_PAD src0_sel:DWORD src1_sel:WORD_0
	v_add_nc_u32_e32 v11, 0x800, v104
	v_add_nc_u32_e32 v50, 0xc00, v102
	s_waitcnt vmcnt(0) lgkmcnt(0)
	v_add_nc_u32_e32 v53, 0x1200, v101
	v_add_nc_u32_e32 v60, 0x1600, v103
	s_barrier
	buffer_gl0_inv
	v_lshrrev_b32_e32 v115, 16, v54
	v_lshrrev_b32_e32 v116, 16, v56
	;; [unrolled: 1-line block ×18, first 2 shown]
	v_mul_f16_sdwa v133, v116, v45 dst_sel:DWORD dst_unused:UNUSED_PAD src0_sel:DWORD src1_sel:WORD_1
	v_mul_f16_sdwa v134, v56, v45 dst_sel:DWORD dst_unused:UNUSED_PAD src0_sel:DWORD src1_sel:WORD_1
	;; [unrolled: 1-line block ×24, first 2 shown]
	v_fma_f16 v56, v56, v45, -v133
	v_fma_f16 v58, v58, v46, -v135
	v_fmac_f16_e32 v134, v116, v45
	v_fmac_f16_e32 v136, v117, v46
	v_fma_f16 v57, v57, v45, -v137
	v_fma_f16 v59, v59, v46, -v139
	v_fmac_f16_e32 v138, v119, v45
	v_fmac_f16_e32 v140, v120, v46
	;; [unrolled: 1-line block ×3, first 2 shown]
	v_fma_f16 v105, v105, v43, -v141
	v_fma_f16 v107, v107, v44, -v143
	v_fmac_f16_e32 v144, v123, v44
	v_fma_f16 v106, v106, v41, -v145
	v_fmac_f16_e32 v146, v125, v41
	;; [unrolled: 2-line block ×7, first 2 shown]
	v_add_f16_e32 v117, v56, v58
	v_add_f16_e32 v122, v134, v136
	v_add_f16_e32 v125, v57, v59
	v_add_f16_e32 v129, v138, v140
	v_add_f16_e32 v132, v105, v107
	v_add_f16_e32 v135, v142, v144
	v_add_f16_e32 v116, v54, v56
	v_sub_f16_e32 v119, v134, v136
	v_add_f16_e32 v120, v115, v134
	v_sub_f16_e32 v56, v56, v58
	v_add_f16_e32 v123, v55, v57
	;; [unrolled: 2-line block ×4, first 2 shown]
	v_add_f16_e32 v138, v106, v108
	v_sub_f16_e32 v139, v146, v148
	v_add_f16_e32 v141, v124, v146
	v_add_f16_e32 v142, v146, v148
	;; [unrolled: 1-line block ×4, first 2 shown]
	v_sub_f16_e32 v146, v150, v152
	v_add_f16_e32 v147, v127, v150
	v_add_f16_e32 v149, v150, v152
	;; [unrolled: 1-line block ×4, first 2 shown]
	v_sub_f16_e32 v153, v154, v156
	v_add_f16_e32 v155, v130, v154
	v_add_f16_e32 v154, v154, v156
	v_fmac_f16_e32 v115, -0.5, v122
	v_fma_f16 v54, -0.5, v117, v54
	v_sub_f16_e32 v57, v57, v59
	v_fmac_f16_e32 v55, -0.5, v125
	v_fmac_f16_e32 v118, -0.5, v129
	v_add_f16_e32 v131, v51, v105
	v_sub_f16_e32 v105, v105, v107
	v_fma_f16 v51, -0.5, v132, v51
	v_fmac_f16_e32 v121, -0.5, v135
	v_add_f16_e32 v137, v52, v106
	v_sub_f16_e32 v106, v106, v108
	v_sub_f16_e32 v111, v111, v113
	;; [unrolled: 1-line block ×3, first 2 shown]
	v_add_f16_e32 v58, v116, v58
	v_add_f16_e32 v116, v120, v136
	v_add_f16_e32 v59, v123, v59
	v_add_f16_e32 v120, v128, v140
	v_fmac_f16_e32 v52, -0.5, v138
	v_fmac_f16_e32 v124, -0.5, v142
	v_add_f16_e32 v113, v143, v113
	v_fma_f16 v109, -0.5, v145, v109
	v_add_f16_e32 v123, v147, v152
	v_fmac_f16_e32 v127, -0.5, v149
	v_add_f16_e32 v114, v150, v114
	v_fmac_f16_e32 v110, -0.5, v151
	;; [unrolled: 2-line block ×3, first 2 shown]
	v_fmamk_f16 v128, v119, 0x3aee, v54
	v_fmac_f16_e32 v54, 0xbaee, v119
	v_fmamk_f16 v119, v56, 0xbaee, v115
	v_fmac_f16_e32 v115, 0x3aee, v56
	;; [unrolled: 2-line block ×4, first 2 shown]
	v_add_f16_e32 v107, v131, v107
	v_add_f16_e32 v122, v134, v144
	v_fmamk_f16 v57, v133, 0x3aee, v51
	v_fmamk_f16 v129, v105, 0xbaee, v121
	v_fmac_f16_e32 v51, 0xbaee, v133
	v_fmac_f16_e32 v121, 0x3aee, v105
	v_add_f16_e32 v108, v137, v108
	v_add_f16_e32 v117, v141, v148
	v_fmamk_f16 v105, v139, 0x3aee, v52
	v_fmac_f16_e32 v52, 0xbaee, v139
	v_fmamk_f16 v131, v106, 0xbaee, v124
	v_fmac_f16_e32 v124, 0x3aee, v106
	;; [unrolled: 2-line block ×6, first 2 shown]
	v_pack_b32_f16 v58, v58, v116
	v_pack_b32_f16 v112, v113, v123
	;; [unrolled: 1-line block ×18, first 2 shown]
	ds_write2_b32 v69, v58, v114 offset1:99
	ds_write2_b32 v65, v54, v59 offset0:70 offset1:169
	ds_write2_b32 v61, v56, v55 offset0:140 offset1:239
	;; [unrolled: 1-line block ×3, first 2 shown]
	ds_write_b32 v104, v51 offset:3168
	ds_write2_b32 v50, v108, v105 offset0:123 offset1:222
	ds_write_b32 v102, v52 offset:4356
	ds_write2_b32 v53, v112, v106 offset0:36 offset1:135
	;; [unrolled: 2-line block ×3, first 2 shown]
	ds_write_b32 v103, v110 offset:6732
	v_lshlrev_b32_e32 v11, 3, v48
	s_waitcnt lgkmcnt(0)
	s_barrier
	buffer_gl0_inv
	s_clause 0x2
	global_load_dwordx2 v[51:52], v49, s[0:1] offset:1144
	global_load_dwordx2 v[49:50], v47, s[0:1] offset:1144
	;; [unrolled: 1-line block ×3, first 2 shown]
	ds_read2_b32 v[53:54], v69 offset1:99
	ds_read2_b32 v[55:56], v62 offset0:82 offset1:181
	ds_read2_b32 v[57:58], v66 offset0:36 offset1:135
	;; [unrolled: 1-line block ×8, first 2 shown]
	v_add_co_u32 v11, s0, s0, v69
	v_add_co_ci_u32_e64 v119, null, s1, 0, s0
	s_waitcnt vmcnt(0) lgkmcnt(0)
	v_add_co_u32 v113, s0, 0x800, v11
	v_add_co_ci_u32_e64 v114, s0, 0, v119, s0
	v_add_co_u32 v117, s0, 0x1000, v11
	s_barrier
	buffer_gl0_inv
	v_lshrrev_b32_e32 v120, 16, v53
	v_lshrrev_b32_e32 v121, 16, v55
	;; [unrolled: 1-line block ×18, first 2 shown]
	v_add_co_ci_u32_e64 v118, s0, 0, v119, s0
	v_mul_f16_sdwa v138, v121, v51 dst_sel:DWORD dst_unused:UNUSED_PAD src0_sel:DWORD src1_sel:WORD_1
	v_mul_f16_sdwa v139, v55, v51 dst_sel:DWORD dst_unused:UNUSED_PAD src0_sel:DWORD src1_sel:WORD_1
	;; [unrolled: 1-line block ×24, first 2 shown]
	v_fma_f16 v55, v55, v51, -v138
	v_fma_f16 v56, v56, v49, -v142
	;; [unrolled: 1-line block ×4, first 2 shown]
	v_fmac_f16_e32 v139, v121, v51
	v_fmac_f16_e32 v141, v122, v52
	v_fmac_f16_e32 v143, v124, v49
	v_fmac_f16_e32 v145, v125, v50
	v_fma_f16 v105, v105, v47, -v146
	v_fma_f16 v107, v107, v48, -v148
	v_fmac_f16_e32 v147, v127, v47
	v_fmac_f16_e32 v150, v128, v48
	v_fma_f16 v106, v106, v51, -v149
	v_fma_f16 v108, v108, v52, -v151
	v_fmac_f16_e32 v152, v130, v51
	v_fmac_f16_e32 v153, v131, v52
	v_fma_f16 v111, v111, v49, -v154
	v_fmac_f16_e32 v155, v133, v49
	v_fma_f16 v115, v115, v50, -v156
	;; [unrolled: 2-line block ×4, first 2 shown]
	v_fmac_f16_e32 v161, v137, v48
	v_add_f16_e32 v122, v55, v57
	v_add_f16_e32 v127, v139, v141
	;; [unrolled: 1-line block ×10, first 2 shown]
	v_sub_f16_e32 v124, v139, v141
	v_sub_f16_e32 v131, v143, v145
	;; [unrolled: 1-line block ×3, first 2 shown]
	v_add_f16_e32 v139, v126, v147
	v_add_f16_e32 v143, v106, v108
	;; [unrolled: 1-line block ×5, first 2 shown]
	v_sub_f16_e32 v55, v55, v57
	v_sub_f16_e32 v56, v56, v58
	v_sub_f16_e32 v144, v152, v153
	v_add_f16_e32 v146, v129, v152
	v_add_f16_e32 v148, v109, v111
	v_sub_f16_e32 v151, v155, v157
	v_add_f16_e32 v152, v132, v155
	v_add_f16_e32 v155, v110, v112
	;; [unrolled: 1-line block ×3, first 2 shown]
	v_sub_f16_e32 v158, v159, v161
	v_add_f16_e32 v160, v135, v159
	v_add_f16_e32 v159, v159, v161
	v_fmac_f16_e32 v120, -0.5, v127
	v_fmac_f16_e32 v54, -0.5, v130
	;; [unrolled: 1-line block ×3, first 2 shown]
	v_fma_f16 v53, -0.5, v122, v53
	v_add_f16_e32 v136, v59, v105
	v_sub_f16_e32 v105, v105, v107
	v_fmac_f16_e32 v126, -0.5, v140
	v_fma_f16 v59, -0.5, v137, v59
	v_add_f16_e32 v142, v60, v106
	v_add_f16_e32 v57, v121, v57
	;; [unrolled: 1-line block ×5, first 2 shown]
	v_sub_f16_e32 v106, v106, v108
	v_sub_f16_e32 v111, v111, v115
	v_fmac_f16_e32 v60, -0.5, v143
	v_fmac_f16_e32 v129, -0.5, v147
	v_fma_f16 v109, -0.5, v149, v109
	v_fmac_f16_e32 v132, -0.5, v154
	v_sub_f16_e32 v112, v112, v116
	v_add_f16_e32 v115, v148, v115
	v_add_f16_e32 v122, v152, v157
	;; [unrolled: 1-line block ×3, first 2 shown]
	v_fmac_f16_e32 v110, -0.5, v156
	v_add_f16_e32 v130, v160, v161
	v_fmac_f16_e32 v135, -0.5, v159
	v_fmamk_f16 v133, v124, 0x3aee, v53
	v_fmac_f16_e32 v53, 0xbaee, v124
	v_fmamk_f16 v124, v55, 0xbaee, v120
	v_fmac_f16_e32 v120, 0x3aee, v55
	;; [unrolled: 2-line block ×4, first 2 shown]
	v_add_f16_e32 v107, v136, v107
	v_add_f16_e32 v127, v139, v150
	v_fmamk_f16 v56, v138, 0x3aee, v59
	v_fmamk_f16 v134, v105, 0xbaee, v126
	v_add_f16_e32 v108, v142, v108
	v_add_f16_e32 v128, v146, v153
	v_fmac_f16_e32 v59, 0xbaee, v138
	v_fmac_f16_e32 v126, 0x3aee, v105
	v_pack_b32_f16 v57, v57, v121
	v_pack_b32_f16 v58, v58, v125
	v_fmamk_f16 v105, v144, 0x3aee, v60
	v_fmac_f16_e32 v60, 0xbaee, v144
	v_fmamk_f16 v136, v106, 0xbaee, v129
	v_fmac_f16_e32 v129, 0x3aee, v106
	v_fmamk_f16 v106, v151, 0x3aee, v109
	v_fmamk_f16 v137, v111, 0xbaee, v132
	v_fmac_f16_e32 v109, 0xbaee, v151
	v_fmac_f16_e32 v132, 0x3aee, v111
	v_fmamk_f16 v111, v158, 0x3aee, v110
	v_fmac_f16_e32 v110, 0xbaee, v158
	v_fmamk_f16 v138, v112, 0xbaee, v135
	v_fmac_f16_e32 v135, 0x3aee, v112
	v_pack_b32_f16 v112, v115, v122
	v_pack_b32_f16 v115, v116, v130
	;; [unrolled: 1-line block ×9, first 2 shown]
	ds_write2_b32 v69, v57, v58 offset1:99
	v_pack_b32_f16 v57, v59, v126
	v_pack_b32_f16 v58, v105, v136
	;; [unrolled: 1-line block ×5, first 2 shown]
	ds_write2_b32 v63, v112, v115 offset0:94 offset1:193
	v_pack_b32_f16 v106, v111, v138
	v_pack_b32_f16 v109, v110, v135
	ds_write2_b32 v62, v53, v54 offset0:82 offset1:181
	ds_write2_b32 v65, v107, v116 offset0:70 offset1:169
	;; [unrolled: 1-line block ×7, first 2 shown]
	v_add_co_u32 v53, s0, 0x1800, v11
	v_add_co_ci_u32_e64 v54, s0, 0, v119, s0
	s_waitcnt lgkmcnt(0)
	s_barrier
	buffer_gl0_inv
	s_clause 0x8
	global_load_dword v108, v[113:114], off offset:1868
	global_load_dword v107, v[117:118], off offset:216
	;; [unrolled: 1-line block ×9, first 2 shown]
	ds_read2_b32 v[118:119], v69 offset1:99
	ds_read2_b32 v[121:122], v64 offset0:24 offset1:123
	ds_read2_b32 v[53:54], v63 offset0:94 offset1:193
	;; [unrolled: 1-line block ×8, first 2 shown]
	v_add_co_u32 v59, s0, 0x1bd8, v6
	v_add_co_ci_u32_e64 v60, s0, 0, v7, s0
	s_waitcnt lgkmcnt(8)
	v_lshrrev_b32_e32 v120, 16, v118
	s_waitcnt lgkmcnt(7)
	v_lshrrev_b32_e32 v11, 16, v122
	s_waitcnt lgkmcnt(6)
	v_lshrrev_b32_e32 v116, 16, v53
	v_lshrrev_b32_e32 v117, 16, v54
	s_waitcnt lgkmcnt(4)
	v_lshrrev_b32_e32 v132, 16, v55
	v_lshrrev_b32_e32 v134, 16, v56
	s_waitcnt lgkmcnt(2)
	v_lshrrev_b32_e32 v138, 16, v58
	;; [unrolled: 3-line block ×3, first 2 shown]
	v_lshrrev_b32_e32 v140, 16, v114
	v_lshrrev_b32_e32 v129, 16, v119
	;; [unrolled: 1-line block ×9, first 2 shown]
	s_waitcnt vmcnt(5)
	v_mul_f16_sdwa v149, v134, v112 dst_sel:DWORD dst_unused:UNUSED_PAD src0_sel:DWORD src1_sel:WORD_1
	s_waitcnt vmcnt(4)
	v_mul_f16_sdwa v150, v136, v111 dst_sel:DWORD dst_unused:UNUSED_PAD src0_sel:DWORD src1_sel:WORD_1
	v_mul_f16_sdwa v143, v116, v108 dst_sel:DWORD dst_unused:UNUSED_PAD src0_sel:DWORD src1_sel:WORD_1
	;; [unrolled: 1-line block ×3, first 2 shown]
	s_waitcnt vmcnt(1)
	v_mul_f16_sdwa v155, v122, v113 dst_sel:DWORD dst_unused:UNUSED_PAD src0_sel:DWORD src1_sel:WORD_1
	v_mul_f16_sdwa v156, v11, v113 dst_sel:DWORD dst_unused:UNUSED_PAD src0_sel:DWORD src1_sel:WORD_1
	;; [unrolled: 1-line block ×7, first 2 shown]
	s_waitcnt vmcnt(0)
	v_mul_f16_sdwa v159, v142, v106 dst_sel:DWORD dst_unused:UNUSED_PAD src0_sel:DWORD src1_sel:WORD_1
	v_mul_f16_sdwa v152, v56, v112 dst_sel:DWORD dst_unused:UNUSED_PAD src0_sel:DWORD src1_sel:WORD_1
	;; [unrolled: 1-line block ×7, first 2 shown]
	v_fma_f16 v53, v53, v108, -v143
	v_fmac_f16_e32 v144, v116, v108
	v_fmac_f16_e32 v155, v11, v113
	v_fma_f16 v11, v122, v113, -v156
	v_fma_f16 v54, v54, v107, -v145
	;; [unrolled: 1-line block ×4, first 2 shown]
	v_fmac_f16_e32 v146, v117, v107
	v_fmac_f16_e32 v148, v132, v105
	v_fma_f16 v115, v115, v106, -v159
	v_fma_f16 v56, v56, v112, -v149
	;; [unrolled: 1-line block ×3, first 2 shown]
	v_fmac_f16_e32 v152, v134, v112
	v_fmac_f16_e32 v153, v136, v111
	v_fma_f16 v116, v114, v109, -v157
	v_fmac_f16_e32 v154, v138, v110
	v_fmac_f16_e32 v158, v140, v109
	;; [unrolled: 1-line block ×3, first 2 shown]
	v_sub_f16_e32 v122, v118, v11
	v_sub_f16_e32 v132, v120, v155
	;; [unrolled: 1-line block ×18, first 2 shown]
	v_fma_f16 v146, v118, 2.0, -v122
	v_fma_f16 v147, v120, 2.0, -v132
	;; [unrolled: 1-line block ×10, first 2 shown]
	v_pack_b32_f16 v121, v122, v132
	v_pack_b32_f16 v122, v134, v136
	;; [unrolled: 1-line block ×3, first 2 shown]
	v_fma_f16 v125, v125, 2.0, -v144
	v_fma_f16 v133, v133, 2.0, -v145
	;; [unrolled: 1-line block ×5, first 2 shown]
	v_pack_b32_f16 v128, v142, v143
	v_pack_b32_f16 v132, v144, v145
	v_fma_f16 v120, v137, 2.0, -v117
	v_fma_f16 v119, v139, 2.0, -v116
	;; [unrolled: 1-line block ×3, first 2 shown]
	v_pack_b32_f16 v134, v53, v114
	v_pack_b32_f16 v136, v55, v117
	;; [unrolled: 1-line block ×7, first 2 shown]
	ds_write2_b32 v63, v122, v127 offset0:94 offset1:193
	v_pack_b32_f16 v122, v124, v131
	v_pack_b32_f16 v124, v125, v133
	ds_write2_b32 v66, v128, v132 offset0:36 offset1:135
	v_pack_b32_f16 v66, v126, v135
	v_pack_b32_f16 v125, v54, v120
	v_pack_b32_f16 v126, v56, v119
	ds_write2_b32 v67, v134, v136 offset0:106 offset1:205
	v_pack_b32_f16 v127, v58, v118
	ds_write2_b32 v68, v137, v138 offset0:48 offset1:147
	ds_write2_b32 v69, v139, v129 offset1:99
	ds_write2_b32 v65, v123, v122 offset0:70 offset1:169
	ds_write2_b32 v61, v124, v66 offset0:140 offset1:239
	;; [unrolled: 1-line block ×4, first 2 shown]
	s_waitcnt lgkmcnt(0)
	s_barrier
	buffer_gl0_inv
	s_clause 0x1
	global_load_dword v62, v[0:1], off offset:984
	global_load_dword v66, v[59:60], off offset:648
	v_add_co_u32 v64, s0, 0x2000, v6
	v_add_co_ci_u32_e64 v65, s0, 0, v7, s0
	v_add_co_u32 v121, s0, 0x2800, v6
	v_add_co_ci_u32_e64 v122, s0, 0, v7, s0
	s_clause 0x3
	global_load_dword v68, v[59:60], off offset:1296
	global_load_dword v127, v[59:60], off offset:1944
	global_load_dword v128, v[64:65], off offset:1528
	global_load_dword v129, v[121:122], off offset:128
	v_add_co_u32 v64, s0, 0x3000, v6
	v_add_co_ci_u32_e64 v65, s0, 0, v7, s0
	s_clause 0x4
	global_load_dword v130, v[121:122], off offset:776
	global_load_dword v131, v[121:122], off offset:1424
	;; [unrolled: 1-line block ×5, first 2 shown]
	ds_read2_b32 v[64:65], v69 offset1:162
	s_waitcnt lgkmcnt(0)
	v_lshrrev_b32_e32 v121, 16, v64
	v_lshrrev_b32_e32 v122, 16, v65
	s_waitcnt vmcnt(10)
	v_mul_f16_sdwa v123, v121, v62 dst_sel:DWORD dst_unused:UNUSED_PAD src0_sel:DWORD src1_sel:WORD_1
	v_mul_f16_sdwa v124, v64, v62 dst_sel:DWORD dst_unused:UNUSED_PAD src0_sel:DWORD src1_sel:WORD_1
	s_waitcnt vmcnt(9)
	v_mul_f16_sdwa v125, v122, v66 dst_sel:DWORD dst_unused:UNUSED_PAD src0_sel:DWORD src1_sel:WORD_1
	v_mul_f16_sdwa v126, v65, v66 dst_sel:DWORD dst_unused:UNUSED_PAD src0_sel:DWORD src1_sel:WORD_1
	v_fma_f16 v64, v64, v62, -v123
	v_fmac_f16_e32 v124, v121, v62
	v_fma_f16 v62, v65, v66, -v125
	v_fmac_f16_e32 v126, v122, v66
	v_pack_b32_f16 v64, v64, v124
	v_pack_b32_f16 v65, v62, v126
	v_add_nc_u32_e32 v62, 0xa00, v69
	ds_write2_b32 v69, v64, v65 offset1:162
	ds_read2_b32 v[64:65], v61 offset0:68 offset1:230
	ds_read2_b32 v[121:122], v62 offset0:8 offset1:170
	;; [unrolled: 1-line block ×4, first 2 shown]
	ds_read_b32 v66, v69 offset:6480
	s_waitcnt lgkmcnt(4)
	v_lshrrev_b32_e32 v135, 16, v64
	v_lshrrev_b32_e32 v137, 16, v65
	s_waitcnt vmcnt(8)
	v_mul_f16_sdwa v136, v64, v68 dst_sel:DWORD dst_unused:UNUSED_PAD src0_sel:DWORD src1_sel:WORD_1
	s_waitcnt vmcnt(7)
	v_mul_f16_sdwa v138, v65, v127 dst_sel:DWORD dst_unused:UNUSED_PAD src0_sel:DWORD src1_sel:WORD_1
	s_waitcnt lgkmcnt(3)
	v_lshrrev_b32_e32 v139, 16, v121
	v_lshrrev_b32_e32 v141, 16, v122
	s_waitcnt vmcnt(6)
	v_mul_f16_sdwa v140, v121, v128 dst_sel:DWORD dst_unused:UNUSED_PAD src0_sel:DWORD src1_sel:WORD_1
	s_waitcnt vmcnt(5)
	v_mul_f16_sdwa v142, v122, v129 dst_sel:DWORD dst_unused:UNUSED_PAD src0_sel:DWORD src1_sel:WORD_1
	;; [unrolled: 7-line block ×3, first 2 shown]
	s_waitcnt lgkmcnt(1)
	v_lshrrev_b32_e32 v147, 16, v125
	v_lshrrev_b32_e32 v149, 16, v126
	s_waitcnt vmcnt(2)
	v_mul_f16_sdwa v148, v125, v132 dst_sel:DWORD dst_unused:UNUSED_PAD src0_sel:DWORD src1_sel:WORD_1
	s_waitcnt lgkmcnt(0)
	v_lshrrev_b32_e32 v151, 16, v66
	v_mul_f16_sdwa v153, v135, v68 dst_sel:DWORD dst_unused:UNUSED_PAD src0_sel:DWORD src1_sel:WORD_1
	v_mul_f16_sdwa v154, v137, v127 dst_sel:DWORD dst_unused:UNUSED_PAD src0_sel:DWORD src1_sel:WORD_1
	v_fmac_f16_e32 v136, v135, v68
	v_fmac_f16_e32 v138, v137, v127
	v_mul_f16_sdwa v135, v139, v128 dst_sel:DWORD dst_unused:UNUSED_PAD src0_sel:DWORD src1_sel:WORD_1
	v_mul_f16_sdwa v137, v141, v129 dst_sel:DWORD dst_unused:UNUSED_PAD src0_sel:DWORD src1_sel:WORD_1
	v_fmac_f16_e32 v140, v139, v128
	v_fmac_f16_e32 v142, v141, v129
	v_mul_f16_sdwa v139, v143, v130 dst_sel:DWORD dst_unused:UNUSED_PAD src0_sel:DWORD src1_sel:WORD_1
	v_mul_f16_sdwa v141, v145, v131 dst_sel:DWORD dst_unused:UNUSED_PAD src0_sel:DWORD src1_sel:WORD_1
	s_waitcnt vmcnt(1)
	v_mul_f16_sdwa v150, v126, v133 dst_sel:DWORD dst_unused:UNUSED_PAD src0_sel:DWORD src1_sel:WORD_1
	v_fmac_f16_e32 v144, v143, v130
	v_fmac_f16_e32 v146, v145, v131
	v_mul_f16_sdwa v143, v147, v132 dst_sel:DWORD dst_unused:UNUSED_PAD src0_sel:DWORD src1_sel:WORD_1
	v_mul_f16_sdwa v145, v149, v133 dst_sel:DWORD dst_unused:UNUSED_PAD src0_sel:DWORD src1_sel:WORD_1
	s_waitcnt vmcnt(0)
	v_mul_f16_sdwa v152, v66, v134 dst_sel:DWORD dst_unused:UNUSED_PAD src0_sel:DWORD src1_sel:WORD_1
	v_fmac_f16_e32 v148, v147, v132
	v_mul_f16_sdwa v147, v151, v134 dst_sel:DWORD dst_unused:UNUSED_PAD src0_sel:DWORD src1_sel:WORD_1
	v_fma_f16 v64, v64, v68, -v153
	v_fma_f16 v65, v65, v127, -v154
	;; [unrolled: 1-line block ×6, first 2 shown]
	v_fmac_f16_e32 v150, v149, v133
	v_fma_f16 v124, v125, v132, -v143
	v_fma_f16 v125, v126, v133, -v145
	v_fmac_f16_e32 v152, v151, v134
	v_fma_f16 v66, v66, v134, -v147
	v_pack_b32_f16 v64, v64, v136
	v_pack_b32_f16 v65, v65, v138
	;; [unrolled: 1-line block ×9, first 2 shown]
	ds_write2_b32 v61, v64, v65 offset0:68 offset1:230
	ds_write2_b32 v62, v68, v121 offset0:8 offset1:170
	;; [unrolled: 1-line block ×4, first 2 shown]
	ds_write_b32 v69, v66 offset:6480
	s_and_saveexec_b32 s1, vcc_lo
	s_cbranch_execz .LBB0_9
; %bb.8:
	s_clause 0x1
	global_load_dword v66, v[59:60], off offset:396
	global_load_dword v68, v[59:60], off offset:1044
	v_add_co_u32 v64, s0, 0x800, v59
	v_add_co_ci_u32_e64 v65, s0, 0, v60, s0
	v_add_co_u32 v121, s0, 0x1000, v59
	v_add_co_ci_u32_e64 v122, s0, 0, v60, s0
	s_clause 0x4
	global_load_dword v125, v[59:60], off offset:1692
	global_load_dword v126, v[64:65], off offset:292
	;; [unrolled: 1-line block ×5, first 2 shown]
	v_add_co_u32 v59, s0, 0x1800, v59
	v_add_co_ci_u32_e64 v60, s0, 0, v60, s0
	s_clause 0x3
	global_load_dword v130, v[121:122], off offset:836
	global_load_dword v131, v[121:122], off offset:1484
	;; [unrolled: 1-line block ×4, first 2 shown]
	v_add_nc_u32_e32 v64, 0x100, v69
	v_add_nc_u32_e32 v135, 0x1500, v69
	ds_read2_b32 v[59:60], v64 offset0:35 offset1:197
	s_waitcnt lgkmcnt(0)
	v_lshrrev_b32_e32 v65, 16, v59
	v_lshrrev_b32_e32 v121, 16, v60
	s_waitcnt vmcnt(10)
	v_mul_f16_sdwa v122, v65, v66 dst_sel:DWORD dst_unused:UNUSED_PAD src0_sel:DWORD src1_sel:WORD_1
	v_mul_f16_sdwa v123, v59, v66 dst_sel:DWORD dst_unused:UNUSED_PAD src0_sel:DWORD src1_sel:WORD_1
	s_waitcnt vmcnt(9)
	v_mul_f16_sdwa v124, v121, v68 dst_sel:DWORD dst_unused:UNUSED_PAD src0_sel:DWORD src1_sel:WORD_1
	v_mul_f16_sdwa v134, v60, v68 dst_sel:DWORD dst_unused:UNUSED_PAD src0_sel:DWORD src1_sel:WORD_1
	v_fma_f16 v59, v59, v66, -v122
	v_fmac_f16_e32 v123, v65, v66
	v_fma_f16 v60, v60, v68, -v124
	v_fmac_f16_e32 v134, v121, v68
	v_add_nc_u32_e32 v66, 0x600, v69
	v_add_nc_u32_e32 v68, 0xb00, v69
	v_pack_b32_f16 v59, v59, v123
	v_pack_b32_f16 v60, v60, v134
	v_add_nc_u32_e32 v134, 0x1000, v69
	ds_write2_b32 v64, v59, v60 offset0:35 offset1:197
	ds_read2_b32 v[59:60], v66 offset0:39 offset1:201
	ds_read2_b32 v[64:65], v68 offset0:43 offset1:205
	;; [unrolled: 1-line block ×4, first 2 shown]
	ds_read_b32 v136, v69 offset:6876
	s_waitcnt lgkmcnt(2)
	v_lshrrev_b32_e32 v145, 16, v121
	v_lshrrev_b32_e32 v137, 16, v59
	s_waitcnt vmcnt(8)
	v_mul_f16_sdwa v138, v59, v125 dst_sel:DWORD dst_unused:UNUSED_PAD src0_sel:DWORD src1_sel:WORD_1
	v_lshrrev_b32_e32 v139, 16, v60
	s_waitcnt vmcnt(7)
	v_mul_f16_sdwa v140, v60, v126 dst_sel:DWORD dst_unused:UNUSED_PAD src0_sel:DWORD src1_sel:WORD_1
	;; [unrolled: 3-line block ×4, first 2 shown]
	s_waitcnt vmcnt(4)
	v_mul_f16_sdwa v146, v121, v129 dst_sel:DWORD dst_unused:UNUSED_PAD src0_sel:DWORD src1_sel:WORD_1
	v_lshrrev_b32_e32 v147, 16, v122
	s_waitcnt vmcnt(3)
	v_mul_f16_sdwa v148, v122, v130 dst_sel:DWORD dst_unused:UNUSED_PAD src0_sel:DWORD src1_sel:WORD_1
	s_waitcnt lgkmcnt(1)
	v_lshrrev_b32_e32 v149, 16, v123
	s_waitcnt vmcnt(2)
	v_mul_f16_sdwa v150, v123, v131 dst_sel:DWORD dst_unused:UNUSED_PAD src0_sel:DWORD src1_sel:WORD_1
	v_lshrrev_b32_e32 v151, 16, v124
	s_waitcnt vmcnt(1)
	v_mul_f16_sdwa v152, v124, v132 dst_sel:DWORD dst_unused:UNUSED_PAD src0_sel:DWORD src1_sel:WORD_1
	s_waitcnt lgkmcnt(0)
	v_lshrrev_b32_e32 v153, 16, v136
	v_mul_f16_sdwa v155, v137, v125 dst_sel:DWORD dst_unused:UNUSED_PAD src0_sel:DWORD src1_sel:WORD_1
	v_fmac_f16_e32 v138, v137, v125
	v_mul_f16_sdwa v137, v139, v126 dst_sel:DWORD dst_unused:UNUSED_PAD src0_sel:DWORD src1_sel:WORD_1
	v_fmac_f16_e32 v140, v139, v126
	;; [unrolled: 2-line block ×7, first 2 shown]
	v_mul_f16_sdwa v149, v151, v132 dst_sel:DWORD dst_unused:UNUSED_PAD src0_sel:DWORD src1_sel:WORD_1
	s_waitcnt vmcnt(0)
	v_mul_f16_sdwa v154, v136, v133 dst_sel:DWORD dst_unused:UNUSED_PAD src0_sel:DWORD src1_sel:WORD_1
	v_fmac_f16_e32 v152, v151, v132
	v_mul_f16_sdwa v151, v153, v133 dst_sel:DWORD dst_unused:UNUSED_PAD src0_sel:DWORD src1_sel:WORD_1
	v_fma_f16 v59, v59, v125, -v155
	v_fma_f16 v60, v60, v126, -v137
	v_fma_f16 v64, v64, v127, -v139
	v_fma_f16 v65, v65, v128, -v141
	v_fma_f16 v121, v121, v129, -v143
	v_fma_f16 v122, v122, v130, -v145
	v_fma_f16 v123, v123, v131, -v147
	v_fma_f16 v124, v124, v132, -v149
	v_fmac_f16_e32 v154, v153, v133
	v_fma_f16 v125, v136, v133, -v151
	v_pack_b32_f16 v59, v59, v138
	v_pack_b32_f16 v60, v60, v140
	;; [unrolled: 1-line block ×9, first 2 shown]
	ds_write2_b32 v66, v59, v60 offset0:39 offset1:201
	ds_write2_b32 v68, v64, v65 offset0:43 offset1:205
	;; [unrolled: 1-line block ×4, first 2 shown]
	ds_write_b32 v69, v125 offset:6876
.LBB0_9:
	s_or_b32 exec_lo, exec_lo, s1
	s_waitcnt lgkmcnt(0)
	s_barrier
	buffer_gl0_inv
	ds_read2_b32 v[59:60], v69 offset1:162
	ds_read2_b32 v[65:66], v61 offset0:68 offset1:230
	ds_read2_b32 v[61:62], v62 offset0:8 offset1:170
	;; [unrolled: 1-line block ×4, first 2 shown]
	ds_read_b32 v121, v69 offset:6480
	s_and_saveexec_b32 s0, vcc_lo
	s_cbranch_execz .LBB0_11
; %bb.10:
	v_add_nc_u32_e32 v9, 0x100, v69
	v_add_nc_u32_e32 v10, 0x600, v69
	;; [unrolled: 1-line block ×3, first 2 shown]
	ds_read2_b32 v[53:54], v9 offset0:35 offset1:197
	v_add_nc_u32_e32 v9, 0x1000, v69
	ds_read2_b32 v[55:56], v10 offset0:39 offset1:201
	v_add_nc_u32_e32 v10, 0x1500, v69
	ds_read2_b32 v[57:58], v11 offset0:43 offset1:205
	ds_read2_b32 v[11:12], v9 offset0:47 offset1:209
	ds_read2_b32 v[9:10], v10 offset0:51 offset1:213
	ds_read_b32 v84, v69 offset:6876
	s_waitcnt lgkmcnt(5)
	v_lshrrev_b32_e32 v114, 16, v53
	v_lshrrev_b32_e32 v120, 16, v54
	s_waitcnt lgkmcnt(4)
	v_lshrrev_b32_e32 v117, 16, v55
	v_lshrrev_b32_e32 v119, 16, v56
	;; [unrolled: 3-line block ×5, first 2 shown]
	s_waitcnt lgkmcnt(0)
	v_lshrrev_b32_e32 v87, 16, v84
.LBB0_11:
	s_or_b32 exec_lo, exec_lo, s0
	s_waitcnt lgkmcnt(5)
	v_pk_add_f16 v122, v59, v60
	s_waitcnt lgkmcnt(0)
	v_pk_add_f16 v123, v121, v60
	v_pk_add_f16 v60, v60, v121 neg_lo:[0,1] neg_hi:[0,1]
	v_pk_add_f16 v130, v65, v68 neg_lo:[0,1] neg_hi:[0,1]
	v_mov_b32_e32 v124, 0xbb47
	v_pk_add_f16 v122, v122, v65
	v_pk_add_f16 v65, v68, v65
	v_pk_mul_f16 v131, 0xb853, v60 op_sel_hi:[0,1]
	v_mov_b32_e32 v128, 0xba0c
	v_mul_f16_sdwa v124, v60, v124 dst_sel:DWORD dst_unused:UNUSED_PAD src0_sel:WORD_1 src1_sel:DWORD
	v_pk_add_f16 v122, v122, v66
	v_mov_b32_e32 v125, 0x36a6
	v_pk_fma_f16 v135, 0x3abb, v123, v131 op_sel:[0,0,1] op_sel_hi:[0,1,0]
	v_pk_fma_f16 v131, 0x3abb, v123, v131 op_sel:[0,0,1] op_sel_hi:[0,1,0] neg_lo:[0,0,1] neg_hi:[0,0,1]
	v_mov_b32_e32 v126, 0xbbeb
	v_pk_add_f16 v122, v122, v61
	v_fmamk_f16 v136, v123, 0x36a6, v124
	v_mul_f16_sdwa v145, v130, v128 dst_sel:DWORD dst_unused:UNUSED_PAD src0_sel:WORD_1 src1_sel:DWORD
	v_bfi_b32 v140, 0xffff, v135, v131
	v_mov_b32_e32 v127, 0xb08e
	v_pk_add_f16 v122, v122, v62
	v_mov_b32_e32 v129, 0xb93d
	v_mul_f16_sdwa v132, v123, v125 dst_sel:DWORD dst_unused:UNUSED_PAD src0_sel:WORD_1 src1_sel:DWORD
	v_pk_add_f16 v140, v59, v140
	v_mul_f16_sdwa v126, v60, v126 dst_sel:DWORD dst_unused:UNUSED_PAD src0_sel:WORD_1 src1_sel:DWORD
	v_pk_add_f16 v122, v122, v63
	v_fma_f16 v124, v123, 0x36a6, -v124
	v_add_f16_e32 v136, v59, v136
	v_mov_b32_e32 v147, 0x3482
	v_mul_f16_sdwa v133, v123, v127 dst_sel:DWORD dst_unused:UNUSED_PAD src0_sel:WORD_1 src1_sel:DWORD
	v_pk_add_f16 v122, v122, v64
	v_fmamk_f16 v137, v60, 0x3b47, v132
	v_fmamk_f16 v138, v123, 0xb08e, v126
	v_fma_f16 v126, v123, 0xb08e, -v126
	v_add_f16_e32 v124, v59, v124
	v_pk_add_f16 v122, v122, v67
	v_mul_f16_sdwa v146, v65, v129 dst_sel:DWORD dst_unused:UNUSED_PAD src0_sel:WORD_1 src1_sel:DWORD
	v_mov_b32_e32 v148, 0xbbad
	v_mul_f16_sdwa v134, v60, v128 dst_sel:DWORD dst_unused:UNUSED_PAD src0_sel:WORD_1 src1_sel:DWORD
	v_fmac_f16_e32 v132, 0xbb47, v60
	v_pk_add_f16 v122, v122, v68
	v_pk_mul_f16 v68, 0xbb47, v130 op_sel_hi:[0,1]
	v_fmamk_f16 v139, v60, 0x3beb, v133
	v_add_f16_sdwa v137, v59, v137 dst_sel:DWORD dst_unused:UNUSED_PAD src0_sel:WORD_1 src1_sel:DWORD
	v_add_f16_e32 v138, v59, v138
	v_add_f16_e32 v126, v59, v126
	v_pk_fma_f16 v143, 0x36a6, v65, v68 op_sel:[0,0,1] op_sel_hi:[0,1,0]
	v_pk_fma_f16 v68, 0x36a6, v65, v68 op_sel:[0,0,1] op_sel_hi:[0,1,0] neg_lo:[0,0,1] neg_hi:[0,0,1]
	v_fmamk_f16 v149, v130, 0x3a0c, v146
	v_mul_f16_sdwa v150, v65, v148 dst_sel:DWORD dst_unused:UNUSED_PAD src0_sel:WORD_1 src1_sel:DWORD
	v_mov_b32_e32 v151, 0x3beb
	v_fmac_f16_e32 v133, 0xbbeb, v60
	v_bfi_b32 v144, 0xffff, v143, v68
	v_add_f16_sdwa v132, v59, v132 dst_sel:DWORD dst_unused:UNUSED_PAD src0_sel:WORD_1 src1_sel:DWORD
	v_add_f16_sdwa v139, v59, v139 dst_sel:DWORD dst_unused:UNUSED_PAD src0_sel:WORD_1 src1_sel:DWORD
	v_pk_add_f16 v121, v122, v121
	v_mul_f16_sdwa v122, v123, v129 dst_sel:DWORD dst_unused:UNUSED_PAD src0_sel:WORD_1 src1_sel:DWORD
	v_pk_add_f16 v140, v144, v140
	v_fmamk_f16 v144, v65, 0xb93d, v145
	v_fma_f16 v145, v65, 0xb93d, -v145
	v_fmamk_f16 v141, v123, 0xb93d, v134
	v_add_f16_e32 v137, v149, v137
	v_fmac_f16_e32 v146, 0xba0c, v130
	v_add_f16_e32 v136, v144, v136
	v_mul_f16_sdwa v144, v130, v147 dst_sel:DWORD dst_unused:UNUSED_PAD src0_sel:WORD_1 src1_sel:DWORD
	v_add_f16_e32 v124, v145, v124
	v_fmamk_f16 v149, v130, 0xb482, v150
	v_add_f16_sdwa v133, v59, v133 dst_sel:DWORD dst_unused:UNUSED_PAD src0_sel:WORD_1 src1_sel:DWORD
	v_fmamk_f16 v142, v60, 0x3a0c, v122
	v_fmamk_f16 v145, v65, 0xbbad, v144
	v_fma_f16 v144, v65, 0xbbad, -v144
	v_add_f16_e32 v141, v59, v141
	v_fma_f16 v134, v123, 0xb93d, -v134
	v_fmac_f16_e32 v122, 0xba0c, v60
	v_add_f16_e32 v138, v145, v138
	v_mul_f16_sdwa v145, v130, v151 dst_sel:DWORD dst_unused:UNUSED_PAD src0_sel:WORD_1 src1_sel:DWORD
	v_add_f16_e32 v126, v144, v126
	v_pk_add_f16 v144, v66, v67 neg_lo:[0,1] neg_hi:[0,1]
	v_add_f16_e32 v132, v146, v132
	v_add_f16_e32 v139, v149, v139
	v_fmac_f16_e32 v150, 0x3482, v130
	v_mul_f16_sdwa v146, v65, v127 dst_sel:DWORD dst_unused:UNUSED_PAD src0_sel:WORD_1 src1_sel:DWORD
	v_fmamk_f16 v149, v65, 0xb08e, v145
	v_pk_add_f16 v66, v67, v66
	v_pk_mul_f16 v67, 0xbbeb, v144 op_sel_hi:[0,1]
	v_add_f16_sdwa v142, v59, v142 dst_sel:DWORD dst_unused:UNUSED_PAD src0_sel:WORD_1 src1_sel:DWORD
	v_add_f16_e32 v134, v59, v134
	v_add_f16_sdwa v122, v59, v122 dst_sel:DWORD dst_unused:UNUSED_PAD src0_sel:WORD_1 src1_sel:DWORD
	v_add_f16_e32 v133, v150, v133
	v_fmamk_f16 v150, v130, 0xbbeb, v146
	v_add_f16_e32 v141, v149, v141
	v_fma_f16 v145, v65, 0xb08e, -v145
	v_pk_fma_f16 v149, 0xb08e, v66, v67 op_sel:[0,0,1] op_sel_hi:[0,1,0]
	v_pk_fma_f16 v67, 0xb08e, v66, v67 op_sel:[0,0,1] op_sel_hi:[0,1,0] neg_lo:[0,0,1] neg_hi:[0,0,1]
	v_fmac_f16_e32 v146, 0x3beb, v130
	v_mul_f16_sdwa v147, v144, v147 dst_sel:DWORD dst_unused:UNUSED_PAD src0_sel:WORD_1 src1_sel:DWORD
	v_add_f16_e32 v142, v150, v142
	v_add_f16_e32 v134, v145, v134
	v_bfi_b32 v145, 0xffff, v149, v67
	v_mul_f16_sdwa v150, v66, v148 dst_sel:DWORD dst_unused:UNUSED_PAD src0_sel:WORD_1 src1_sel:DWORD
	v_add_f16_e32 v122, v146, v122
	v_fmamk_f16 v146, v66, 0xbbad, v147
	v_mov_b32_e32 v152, 0x3b47
	v_pk_add_f16 v140, v145, v140
	v_fmamk_f16 v145, v144, 0xb482, v150
	v_fma_f16 v147, v66, 0xbbad, -v147
	v_add_f16_e32 v136, v146, v136
	v_mul_f16_sdwa v146, v144, v152 dst_sel:DWORD dst_unused:UNUSED_PAD src0_sel:WORD_1 src1_sel:DWORD
	v_mul_f16_sdwa v153, v66, v125 dst_sel:DWORD dst_unused:UNUSED_PAD src0_sel:WORD_1 src1_sel:DWORD
	v_add_f16_e32 v137, v145, v137
	v_add_f16_e32 v124, v147, v124
	v_fmac_f16_e32 v150, 0x3482, v144
	v_fmamk_f16 v145, v66, 0x36a6, v146
	v_fmamk_f16 v147, v144, 0xbb47, v153
	v_mov_b32_e32 v154, 0xb853
	v_mov_b32_e32 v155, 0x3abb
	v_add_f16_e32 v132, v150, v132
	v_add_f16_e32 v138, v145, v138
	;; [unrolled: 1-line block ×3, first 2 shown]
	v_mul_f16_sdwa v145, v144, v154 dst_sel:DWORD dst_unused:UNUSED_PAD src0_sel:WORD_1 src1_sel:DWORD
	v_mul_f16_sdwa v147, v66, v155 dst_sel:DWORD dst_unused:UNUSED_PAD src0_sel:WORD_1 src1_sel:DWORD
	v_pk_add_f16 v150, v61, v64 neg_lo:[0,1] neg_hi:[0,1]
	v_pk_add_f16 v61, v64, v61
	v_fma_f16 v146, v66, 0x36a6, -v146
	v_fmamk_f16 v156, v66, 0x3abb, v145
	v_fmamk_f16 v157, v144, 0x3853, v147
	v_pk_mul_f16 v64, 0xba0c, v150 op_sel_hi:[0,1]
	v_fma_f16 v145, v66, 0x3abb, -v145
	v_mul_f16_sdwa v151, v150, v151 dst_sel:DWORD dst_unused:UNUSED_PAD src0_sel:WORD_1 src1_sel:DWORD
	v_fmac_f16_e32 v147, 0xb853, v144
	v_mul_f16_sdwa v127, v61, v127 dst_sel:DWORD dst_unused:UNUSED_PAD src0_sel:WORD_1 src1_sel:DWORD
	v_fmac_f16_e32 v153, 0x3b47, v144
	v_add_f16_e32 v126, v146, v126
	v_pk_fma_f16 v146, 0xb93d, v61, v64 op_sel:[0,0,1] op_sel_hi:[0,1,0]
	v_pk_fma_f16 v64, 0xb93d, v61, v64 op_sel:[0,0,1] op_sel_hi:[0,1,0] neg_lo:[0,0,1] neg_hi:[0,0,1]
	v_add_f16_e32 v134, v145, v134
	v_fmamk_f16 v145, v61, 0xb08e, v151
	v_add_f16_e32 v122, v147, v122
	v_fmamk_f16 v147, v150, 0xbbeb, v127
	v_add_f16_e32 v133, v153, v133
	v_bfi_b32 v153, 0xffff, v146, v64
	v_fma_f16 v151, v61, 0xb08e, -v151
	v_add_f16_e32 v136, v145, v136
	v_mul_f16_sdwa v145, v150, v154 dst_sel:DWORD dst_unused:UNUSED_PAD src0_sel:WORD_1 src1_sel:DWORD
	v_add_f16_e32 v137, v147, v137
	v_mul_f16_sdwa v147, v61, v155 dst_sel:DWORD dst_unused:UNUSED_PAD src0_sel:WORD_1 src1_sel:DWORD
	v_pk_add_f16 v140, v153, v140
	v_add_f16_e32 v124, v151, v124
	v_fmac_f16_e32 v127, 0x3beb, v150
	v_fmamk_f16 v151, v61, 0x3abb, v145
	v_mov_b32_e32 v153, 0xb482
	v_fmamk_f16 v154, v150, 0x3853, v147
	v_fma_f16 v145, v61, 0x3abb, -v145
	v_fmac_f16_e32 v147, 0xb853, v150
	v_add_f16_e32 v127, v127, v132
	v_add_f16_e32 v132, v151, v138
	v_mul_f16_sdwa v138, v150, v153 dst_sel:DWORD dst_unused:UNUSED_PAD src0_sel:WORD_1 src1_sel:DWORD
	v_add_f16_e32 v126, v145, v126
	v_pk_add_f16 v145, v62, v63 neg_lo:[0,1] neg_hi:[0,1]
	v_add_f16_e32 v133, v147, v133
	v_mov_b32_e32 v147, 0x3853
	v_fmamk_f16 v151, v61, 0xbbad, v138
	v_pk_add_f16 v62, v63, v62
	v_fma_f16 v138, v61, 0xbbad, -v138
	v_add_f16_e32 v141, v156, v141
	v_mul_f16_sdwa v147, v145, v147 dst_sel:DWORD dst_unused:UNUSED_PAD src0_sel:WORD_1 src1_sel:DWORD
	v_add_f16_e32 v139, v154, v139
	v_mul_f16_sdwa v148, v61, v148 dst_sel:DWORD dst_unused:UNUSED_PAD src0_sel:WORD_1 src1_sel:DWORD
	;; [unrolled: 2-line block ×3, first 2 shown]
	v_fmamk_f16 v138, v62, 0x3abb, v147
	v_pk_mul_f16 v63, 0xb482, v145 op_sel_hi:[0,1]
	v_add_f16_e32 v141, v151, v141
	v_fmamk_f16 v151, v150, 0x3482, v148
	v_fmac_f16_e32 v148, 0xb482, v150
	v_mul_f16_sdwa v128, v145, v128 dst_sel:DWORD dst_unused:UNUSED_PAD src0_sel:WORD_1 src1_sel:DWORD
	v_add_f16_e32 v136, v138, v136
	v_fmamk_f16 v138, v145, 0xb853, v154
	v_fma_f16 v147, v62, 0x3abb, -v147
	v_mul_f16_sdwa v129, v62, v129 dst_sel:DWORD dst_unused:UNUSED_PAD src0_sel:WORD_1 src1_sel:DWORD
	v_add_f16_e32 v142, v157, v142
	v_pk_fma_f16 v153, 0xbbad, v62, v63 op_sel:[0,0,1] op_sel_hi:[0,1,0]
	v_pk_fma_f16 v63, 0xbbad, v62, v63 op_sel:[0,0,1] op_sel_hi:[0,1,0] neg_lo:[0,0,1] neg_hi:[0,0,1]
	v_add_f16_e32 v122, v148, v122
	v_fmamk_f16 v148, v62, 0xb93d, v128
	v_add_f16_e32 v137, v138, v137
	v_add_f16_e32 v124, v147, v124
	v_fmamk_f16 v138, v145, 0x3a0c, v129
	v_fma_f16 v128, v62, 0xb93d, -v128
	v_fmac_f16_e32 v129, 0xba0c, v145
	v_mul_f16_sdwa v147, v145, v152 dst_sel:DWORD dst_unused:UNUSED_PAD src0_sel:WORD_1 src1_sel:DWORD
	v_add_f16_e32 v142, v151, v142
	v_bfi_b32 v151, 0xffff, v153, v63
	v_add_f16_e32 v126, v128, v126
	v_add_f16_e32 v128, v129, v133
	v_fmamk_f16 v129, v62, 0x36a6, v147
	v_pk_mul_f16 v123, 0xbbad, v123 op_sel_hi:[0,1]
	v_pk_add_f16 v140, v151, v140
	v_mul_f16_sdwa v125, v62, v125 dst_sel:DWORD dst_unused:UNUSED_PAD src0_sel:WORD_1 src1_sel:DWORD
	v_pk_mul_f16 v65, 0x3abb, v65 op_sel_hi:[0,1]
	v_add_f16_e32 v129, v129, v141
	v_pk_fma_f16 v141, 0xb482, v60, v123 op_sel:[0,0,1] op_sel_hi:[0,1,0]
	s_barrier
	buffer_gl0_inv
	v_add_f16_e32 v132, v148, v132
	v_add_f16_e32 v138, v138, v139
	v_fmamk_f16 v133, v145, 0xbb47, v125
	v_fmac_f16_e32 v125, 0x3b47, v145
	ds_write2_b32 v83, v121, v140 offset1:1
	v_alignbit_b32 v121, s0, v141, 16
	v_pk_fma_f16 v60, 0xb482, v60, v123 op_sel:[0,0,1] op_sel_hi:[0,1,0] neg_lo:[0,1,0] neg_hi:[0,1,0]
	v_pk_fma_f16 v123, 0x3853, v130, v65 op_sel:[0,0,1] op_sel_hi:[0,1,0]
	v_pk_mul_f16 v66, 0xb93d, v66 op_sel_hi:[0,1]
	v_add_f16_e32 v122, v125, v122
	v_pack_b32_f16 v125, v132, v138
	v_pack_b32_f16 v132, v136, v137
	v_pk_add_f16 v121, v59, v121
	v_alignbit_b32 v136, s0, v59, 16
	v_pk_add_f16 v60, v59, v60 op_sel:[1,0] op_sel_hi:[0,1]
	v_alignbit_b32 v137, s0, v123, 16
	v_pk_fma_f16 v65, 0x3853, v130, v65 op_sel:[0,0,1] op_sel_hi:[0,1,0] neg_lo:[0,1,0] neg_hi:[0,1,0]
	v_pk_fma_f16 v130, 0xba0c, v144, v66 op_sel:[0,0,1] op_sel_hi:[0,1,0]
	v_pk_mul_f16 v61, 0x36a6, v61 op_sel_hi:[0,1]
	v_pk_add_f16 v136, v136, v141
	v_pk_add_f16 v121, v137, v121
	;; [unrolled: 1-line block ×3, first 2 shown]
	v_alignbit_b32 v65, s0, v130, 16
	v_pk_fma_f16 v66, 0xba0c, v144, v66 op_sel:[0,0,1] op_sel_hi:[0,1,0] neg_lo:[0,1,0] neg_hi:[0,1,0]
	v_pk_fma_f16 v137, 0x3b47, v150, v61 op_sel:[0,0,1] op_sel_hi:[0,1,0]
	v_bfi_b32 v131, 0xffff, v131, v135
	v_fma_f16 v139, v62, 0x36a6, -v147
	v_pk_add_f16 v123, v123, v136
	v_pk_add_f16 v65, v65, v121
	;; [unrolled: 1-line block ×3, first 2 shown]
	v_alignbit_b32 v66, s0, v137, 16
	v_pk_mul_f16 v62, 0xb08e, v62 op_sel_hi:[0,1]
	v_pk_add_f16 v59, v59, v131
	v_bfi_b32 v68, 0xffff, v68, v143
	v_pk_add_f16 v121, v130, v123
	v_pk_fma_f16 v61, 0x3b47, v150, v61 op_sel:[0,0,1] op_sel_hi:[0,1,0] neg_lo:[0,1,0] neg_hi:[0,1,0]
	v_pk_add_f16 v65, v66, v65
	v_pk_fma_f16 v66, 0xbbeb, v145, v62 op_sel:[0,0,1] op_sel_hi:[0,1,0]
	v_pk_add_f16 v59, v68, v59
	v_bfi_b32 v67, 0xffff, v67, v149
	v_pk_add_f16 v60, v61, v60
	v_pk_fma_f16 v61, 0xbbeb, v145, v62 op_sel:[0,0,1] op_sel_hi:[0,1,0] neg_lo:[0,1,0] neg_hi:[0,1,0]
	v_pk_add_f16 v62, v137, v121
	v_alignbit_b32 v68, s0, v66, 16
	v_fmac_f16_e32 v154, 0x3853, v145
	v_pk_add_f16 v59, v67, v59
	v_bfi_b32 v64, 0xffff, v64, v146
	v_add_f16_e32 v133, v133, v142
	v_pk_add_f16 v60, v61, v60
	v_pk_add_f16 v61, v66, v62
	;; [unrolled: 1-line block ×3, first 2 shown]
	v_add_f16_e32 v134, v139, v134
	v_add_f16_e32 v127, v154, v127
	v_pk_add_f16 v59, v64, v59
	v_bfi_b32 v63, 0xffff, v63, v153
	v_pack_b32_f16 v65, v129, v133
	v_alignbit_b32 v61, v61, v60, 16
	v_pack_b32_f16 v60, v62, v60
	v_pack_b32_f16 v62, v126, v128
	;; [unrolled: 1-line block ×3, first 2 shown]
	v_pk_add_f16 v59, v63, v59
	v_pack_b32_f16 v63, v124, v127
	ds_write2_b32 v83, v132, v125 offset0:2 offset1:3
	ds_write_b32 v83, v65 offset:16
	ds_write2_b32 v83, v60, v61 offset0:5 offset1:6
	ds_write2_b32 v83, v64, v62 offset0:7 offset1:8
	;; [unrolled: 1-line block ×3, first 2 shown]
	s_and_saveexec_b32 s0, vcc_lo
	s_cbranch_execz .LBB0_13
; %bb.12:
	v_sub_f16_e32 v59, v54, v84
	v_add_f16_e32 v60, v87, v120
	v_sub_f16_e32 v61, v55, v10
	v_add_f16_e32 v62, v85, v117
	v_sub_f16_e32 v63, v56, v9
	v_mul_f16_e32 v64, 0xb482, v59
	v_add_f16_e32 v65, v86, v119
	v_mul_f16_e32 v68, 0x3853, v61
	v_sub_f16_e32 v66, v57, v12
	v_sub_f16_e32 v122, v120, v87
	v_fmamk_f16 v83, v60, 0xbbad, v64
	v_mul_f16_e32 v123, 0xba0c, v63
	v_fmamk_f16 v124, v62, 0x3abb, v68
	v_add_f16_e32 v67, v88, v116
	v_add_f16_e32 v121, v84, v54
	v_add_f16_e32 v83, v114, v83
	v_sub_f16_e32 v125, v117, v85
	v_mul_f16_e32 v126, 0x3b47, v66
	v_mul_f16_e32 v127, 0xb482, v122
	v_fmamk_f16 v128, v65, 0xb93d, v123
	v_add_f16_e32 v83, v124, v83
	v_add_f16_e32 v124, v10, v55
	v_mul_f16_e32 v129, 0x3853, v125
	v_fma_f16 v130, v121, 0xbbad, -v127
	v_fmamk_f16 v131, v67, 0x36a6, v126
	v_add_f16_e32 v83, v128, v83
	v_sub_f16_e32 v128, v119, v86
	v_fma_f16 v133, v124, 0x3abb, -v129
	v_add_f16_e32 v130, v53, v130
	v_add_f16_e32 v134, v9, v56
	;; [unrolled: 1-line block ×3, first 2 shown]
	v_mul_f16_e32 v135, 0xba0c, v128
	v_sub_f16_e32 v131, v116, v88
	v_add_f16_e32 v130, v133, v130
	v_add_f16_e32 v137, v12, v57
	v_sub_f16_e32 v140, v118, v115
	v_fma_f16 v133, v134, 0xb93d, -v135
	v_mul_f16_e32 v138, 0x3b47, v131
	v_fma_f16 v64, v60, 0xbbad, -v64
	v_fmac_f16_e32 v127, 0xbbad, v121
	v_add_f16_e32 v141, v11, v58
	v_add_f16_e32 v130, v133, v130
	v_fma_f16 v133, v137, 0x36a6, -v138
	v_mul_f16_e32 v142, 0xbbeb, v140
	v_add_f16_e32 v64, v114, v64
	v_fma_f16 v68, v62, 0x3abb, -v68
	v_add_f16_e32 v127, v53, v127
	v_fmac_f16_e32 v129, 0x3abb, v124
	v_sub_f16_e32 v132, v58, v11
	v_add_f16_e32 v130, v133, v130
	v_fma_f16 v133, v141, 0xb08e, -v142
	v_add_f16_e32 v64, v68, v64
	v_fma_f16 v68, v65, 0xb93d, -v123
	v_add_f16_e32 v127, v129, v127
	v_fmac_f16_e32 v135, 0xb93d, v134
	v_mul_f16_e32 v136, 0xbbeb, v132
	v_add_f16_e32 v139, v115, v118
	v_add_f16_e32 v123, v133, v130
	v_mul_f16_e32 v130, 0xb93d, v60
	v_add_f16_e32 v64, v68, v64
	v_fma_f16 v68, v67, 0x36a6, -v126
	v_add_f16_e32 v127, v135, v127
	v_fmac_f16_e32 v138, 0x36a6, v137
	v_fmamk_f16 v126, v59, 0x3a0c, v130
	v_mul_f16_e32 v133, 0xb08e, v62
	v_add_f16_e32 v64, v68, v64
	v_fma_f16 v135, v139, 0xb08e, -v136
	v_add_f16_e32 v127, v138, v127
	v_fmac_f16_e32 v142, 0xb08e, v141
	v_mul_f16_e32 v138, 0xba0c, v122
	v_add_f16_e32 v68, v114, v126
	v_fmamk_f16 v126, v61, 0xbbeb, v133
	v_mul_f16_e32 v129, 0x3abb, v65
	v_add_f16_e32 v64, v135, v64
	v_add_f16_e32 v127, v142, v127
	v_fmamk_f16 v135, v121, 0xb93d, v138
	v_mul_f16_e32 v142, 0x3beb, v125
	v_fmamk_f16 v143, v139, 0xb08e, v136
	v_add_f16_e32 v68, v126, v68
	v_fmamk_f16 v126, v63, 0x3853, v129
	v_mul_f16_e32 v136, 0xbbad, v67
	v_add_f16_e32 v135, v53, v135
	v_fmamk_f16 v144, v124, 0xb08e, v142
	v_mul_f16_e32 v145, 0xb853, v128
	;; [unrolled: 3-line block ×3, first 2 shown]
	v_add_f16_e32 v135, v144, v135
	v_fmamk_f16 v144, v134, 0x3abb, v145
	v_add_f16_e32 v83, v143, v83
	v_add_f16_e32 v68, v126, v68
	v_mul_f16_e32 v126, 0x36a6, v139
	v_mul_f16_e32 v143, 0xb08e, v60
	v_add_f16_e32 v135, v144, v135
	v_fmamk_f16 v144, v137, 0xbbad, v149
	v_mul_f16_e32 v152, 0x3b47, v140
	v_fmamk_f16 v146, v132, 0xbb47, v126
	v_fmamk_f16 v147, v59, 0x3beb, v143
	v_mul_f16_e32 v148, 0xbbad, v62
	v_add_f16_e32 v135, v144, v135
	v_fmamk_f16 v144, v141, 0x36a6, v152
	v_mul_f16_e32 v154, 0xbbeb, v122
	v_add_f16_e32 v147, v114, v147
	;; [unrolled: 3-line block ×3, first 2 shown]
	v_add_f16_e32 v135, v144, v135
	v_fmamk_f16 v144, v121, 0xb08e, v154
	v_mul_f16_e32 v146, 0x3482, v125
	v_add_f16_e32 v147, v150, v147
	v_fmamk_f16 v150, v63, 0xbb47, v151
	v_mul_f16_e32 v153, 0x3abb, v67
	v_mul_f16_e32 v155, 0x36a6, v60
	v_add_f16_e32 v144, v53, v144
	v_fmamk_f16 v156, v124, 0xbbad, v146
	v_mul_f16_e32 v157, 0x3b47, v128
	v_add_f16_e32 v147, v150, v147
	v_fmamk_f16 v150, v66, 0x3853, v153
	v_fmamk_f16 v159, v59, 0x3b47, v155
	v_mul_f16_e32 v160, 0xb93d, v62
	v_add_f16_e32 v144, v156, v144
	v_fmamk_f16 v156, v134, 0x36a6, v157
	v_mul_f16_e32 v161, 0xb853, v131
	v_add_f16_e32 v147, v150, v147
	v_mul_f16_e32 v150, 0xb93d, v139
	v_add_f16_e32 v159, v114, v159
	v_fmamk_f16 v162, v61, 0x3a0c, v160
	v_mul_f16_e32 v163, 0xbbad, v65
	v_add_f16_e32 v144, v156, v144
	v_fmamk_f16 v156, v137, 0x3abb, v161
	v_fmamk_f16 v158, v132, 0x3a0c, v150
	v_mul_f16_e32 v164, 0xba0c, v140
	v_add_f16_e32 v159, v162, v159
	v_fmamk_f16 v162, v63, 0xb482, v163
	v_mul_f16_e32 v165, 0xb08e, v67
	v_add_f16_e32 v144, v156, v144
	v_mul_f16_e32 v156, 0xbb47, v122
	v_fmamk_f16 v166, v141, 0xb93d, v164
	v_add_f16_e32 v159, v162, v159
	v_fmamk_f16 v162, v66, 0xbbeb, v165
	v_add_f16_e32 v147, v158, v147
	v_fmamk_f16 v158, v121, 0x36a6, v156
	v_mul_f16_e32 v167, 0xba0c, v125
	v_mul_f16_e32 v60, 0x3abb, v60
	v_add_f16_e32 v144, v166, v144
	v_add_f16_e32 v159, v162, v159
	;; [unrolled: 1-line block ×3, first 2 shown]
	v_fmamk_f16 v162, v124, 0xb93d, v167
	v_mul_f16_e32 v166, 0x3482, v128
	v_fmamk_f16 v169, v59, 0x3853, v60
	v_mul_f16_e32 v62, 0x36a6, v62
	v_mul_f16_e32 v170, 0x3beb, v131
	v_add_f16_e32 v158, v162, v158
	v_fmamk_f16 v162, v134, 0xbbad, v166
	v_add_f16_e32 v169, v114, v169
	v_fmamk_f16 v171, v61, 0x3b47, v62
	v_mul_f16_e32 v65, 0xb08e, v65
	v_mul_f16_e32 v172, 0x3853, v140
	v_add_f16_e32 v158, v162, v158
	v_fmamk_f16 v162, v137, 0xb08e, v170
	v_add_f16_e32 v169, v171, v169
	;; [unrolled: 6-line block ×3, first 2 shown]
	v_fmamk_f16 v171, v66, 0x3a0c, v67
	v_add_f16_e32 v54, v54, v53
	v_mul_f16_e32 v125, 0xbb47, v125
	v_add_f16_e32 v158, v162, v158
	v_mul_f16_e32 v168, 0x3abb, v139
	v_add_f16_e32 v162, v171, v169
	v_fmamk_f16 v169, v121, 0x3abb, v122
	v_add_f16_e32 v54, v55, v54
	v_add_f16_e32 v55, v120, v114
	v_mul_f16_e32 v120, 0xbbad, v139
	v_fmac_f16_e32 v130, 0xba0c, v59
	v_add_f16_e32 v139, v53, v169
	v_fmamk_f16 v169, v124, 0x36a6, v125
	v_add_f16_e32 v54, v56, v54
	v_add_f16_e32 v55, v117, v55
	v_mul_f16_e32 v56, 0xbbeb, v128
	v_fmac_f16_e32 v133, 0x3beb, v61
	v_add_f16_e32 v128, v169, v139
	v_add_f16_e32 v54, v57, v54
	v_add_f16_e32 v55, v119, v55
	v_fmamk_f16 v57, v134, 0xb08e, v56
	v_mul_f16_e32 v119, 0xba0c, v131
	v_fmac_f16_e32 v129, 0xb853, v63
	v_add_f16_e32 v54, v58, v54
	v_add_f16_e32 v55, v116, v55
	;; [unrolled: 1-line block ×3, first 2 shown]
	v_fmamk_f16 v58, v137, 0xb93d, v119
	v_mul_f16_e32 v116, 0xb482, v140
	v_add_f16_e32 v11, v11, v54
	v_add_f16_e32 v54, v118, v55
	v_fmac_f16_e32 v155, 0xbb47, v59
	v_add_f16_e32 v55, v58, v57
	v_fmamk_f16 v57, v141, 0xbbad, v116
	v_add_f16_e32 v11, v12, v11
	v_add_f16_e32 v12, v115, v54
	v_add_f16_e32 v54, v114, v130
	v_fma_f16 v58, v124, 0xbbad, -v146
	v_add_f16_e32 v55, v57, v55
	v_fma_f16 v57, v121, 0xb93d, -v138
	v_add_f16_e32 v9, v9, v11
	v_add_f16_e32 v11, v88, v12
	;; [unrolled: 1-line block ×3, first 2 shown]
	v_fmac_f16_e32 v160, 0xba0c, v61
	v_add_f16_e32 v54, v53, v57
	v_fma_f16 v57, v124, 0xb08e, -v142
	v_add_f16_e32 v9, v10, v9
	v_add_f16_e32 v10, v86, v11
	;; [unrolled: 1-line block ×3, first 2 shown]
	v_fmac_f16_e32 v163, 0x3482, v63
	v_add_f16_e32 v12, v57, v54
	v_fma_f16 v57, v121, 0xb08e, -v154
	v_fma_f16 v54, v134, 0x3abb, -v145
	v_add_f16_e32 v10, v85, v10
	v_add_f16_e32 v85, v114, v155
	;; [unrolled: 1-line block ×5, first 2 shown]
	v_fma_f16 v54, v137, 0xbbad, -v149
	v_add_f16_e32 v85, v160, v85
	v_fmac_f16_e32 v143, 0xbbeb, v59
	v_add_f16_e32 v57, v58, v57
	v_fma_f16 v58, v134, 0x36a6, -v157
	v_add_f16_e32 v12, v54, v12
	v_fma_f16 v84, v141, 0x36a6, -v152
	v_add_f16_e32 v85, v163, v85
	v_fmac_f16_e32 v165, 0x3beb, v66
	v_add_f16_e32 v57, v58, v57
	v_fma_f16 v58, v137, 0x3abb, -v161
	v_fmac_f16_e32 v60, 0xb853, v59
	v_fma_f16 v59, v121, 0x3abb, -v122
	v_add_f16_e32 v54, v114, v143
	v_fmac_f16_e32 v148, 0x3482, v61
	v_add_f16_e32 v57, v58, v57
	v_fma_f16 v58, v141, 0xb93d, -v164
	v_add_f16_e32 v12, v84, v12
	v_add_f16_e32 v84, v165, v85
	v_fma_f16 v85, v124, 0xb93d, -v167
	v_add_f16_e32 v60, v114, v60
	v_add_f16_e32 v57, v58, v57
	v_fma_f16 v58, v121, 0x36a6, -v156
	v_fmac_f16_e32 v62, 0xbb47, v61
	v_add_f16_e32 v54, v148, v54
	v_fmac_f16_e32 v151, 0x3b47, v63
	v_fma_f16 v61, v134, 0xbbad, -v166
	v_add_f16_e32 v58, v53, v58
	v_add_f16_e32 v53, v53, v59
	v_fma_f16 v59, v124, 0x36a6, -v125
	v_add_f16_e32 v60, v62, v60
	v_fmac_f16_e32 v65, 0xbbeb, v63
	v_add_f16_e32 v58, v85, v58
	v_fma_f16 v56, v134, 0xb08e, -v56
	v_add_f16_e32 v53, v59, v53
	v_fmamk_f16 v117, v132, 0x3482, v120
	v_fmac_f16_e32 v136, 0xb482, v66
	v_add_f16_e32 v54, v151, v54
	v_fmac_f16_e32 v153, 0xb853, v66
	v_add_f16_e32 v58, v61, v58
	v_fma_f16 v59, v137, 0xb08e, -v170
	v_add_f16_e32 v60, v65, v60
	v_fmac_f16_e32 v67, 0xba0c, v66
	v_add_f16_e32 v53, v56, v53
	v_fma_f16 v56, v137, 0xb93d, -v119
	v_fmamk_f16 v173, v132, 0xb853, v168
	v_add_f16_e32 v117, v117, v162
	v_add_f16_e32 v10, v87, v10
	;; [unrolled: 1-line block ×3, first 2 shown]
	v_fmac_f16_e32 v126, 0x3b47, v132
	v_add_f16_e32 v54, v153, v54
	v_fmac_f16_e32 v150, 0xba0c, v132
	v_fmac_f16_e32 v168, 0x3853, v132
	v_add_f16_e32 v58, v59, v58
	v_fma_f16 v59, v141, 0x3abb, -v172
	v_add_f16_e32 v60, v67, v60
	v_fmac_f16_e32 v120, 0xb482, v132
	v_add_f16_e32 v53, v56, v53
	v_fma_f16 v56, v141, 0xbbad, -v116
	v_add_f16_e32 v159, v173, v159
	v_lshlrev_b32_e32 v61, 2, v82
	v_pack_b32_f16 v55, v55, v117
	v_pack_b32_f16 v9, v9, v10
	v_add_f16_e32 v11, v126, v11
	v_add_f16_e32 v54, v150, v54
	;; [unrolled: 1-line block ×6, first 2 shown]
	ds_write2_b32 v61, v9, v55 offset1:1
	v_pack_b32_f16 v9, v144, v147
	v_pack_b32_f16 v55, v158, v159
	;; [unrolled: 1-line block ×9, first 2 shown]
	ds_write2_b32 v61, v55, v9 offset0:2 offset1:3
	ds_write2_b32 v61, v60, v56 offset0:4 offset1:5
	;; [unrolled: 1-line block ×4, first 2 shown]
	ds_write_b32 v61, v53 offset:40
.LBB0_13:
	s_or_b32 exec_lo, exec_lo, s0
	v_add_nc_u32_e32 v12, 0x800, v69
	v_add_nc_u32_e32 v54, 0x1200, v69
	;; [unrolled: 1-line block ×5, first 2 shown]
	s_waitcnt lgkmcnt(0)
	s_barrier
	buffer_gl0_inv
	ds_read2_b32 v[57:58], v69 offset1:99
	ds_read2_b32 v[59:60], v12 offset0:82 offset1:181
	ds_read2_b32 v[61:62], v54 offset0:36 offset1:135
	;; [unrolled: 1-line block ×5, first 2 shown]
	v_add_nc_u32_e32 v11, 0x400, v69
	v_add_nc_u32_e32 v10, 0xe00, v69
	;; [unrolled: 1-line block ×3, first 2 shown]
	ds_read2_b32 v[82:83], v11 offset0:140 offset1:239
	ds_read2_b32 v[84:85], v10 offset0:94 offset1:193
	ds_read2_b32 v[86:87], v56 offset0:48 offset1:147
	s_waitcnt lgkmcnt(0)
	s_barrier
	buffer_gl0_inv
	s_mov_b32 s4, 0x7210aa18
	s_mov_b32 s5, 0x3f426369
	v_lshrrev_b32_e32 v115, 16, v59
	v_lshrrev_b32_e32 v116, 16, v61
	;; [unrolled: 1-line block ×4, first 2 shown]
	v_mul_f16_sdwa v131, v23, v59 dst_sel:DWORD dst_unused:UNUSED_PAD src0_sel:WORD_1 src1_sel:DWORD
	v_mul_f16_sdwa v129, v23, v115 dst_sel:DWORD dst_unused:UNUSED_PAD src0_sel:WORD_1 src1_sel:DWORD
	;; [unrolled: 1-line block ×3, first 2 shown]
	v_lshrrev_b32_e32 v120, 16, v65
	v_lshrrev_b32_e32 v121, 16, v67
	;; [unrolled: 1-line block ×3, first 2 shown]
	v_fmac_f16_e32 v129, v23, v59
	v_mul_f16_sdwa v59, v24, v61 dst_sel:DWORD dst_unused:UNUSED_PAD src0_sel:WORD_1 src1_sel:DWORD
	v_fma_f16 v23, v23, v115, -v131
	v_mul_f16_sdwa v115, v21, v117 dst_sel:DWORD dst_unused:UNUSED_PAD src0_sel:WORD_1 src1_sel:DWORD
	v_fmac_f16_e32 v133, v24, v61
	v_mul_f16_sdwa v61, v21, v60 dst_sel:DWORD dst_unused:UNUSED_PAD src0_sel:WORD_1 src1_sel:DWORD
	v_fma_f16 v24, v24, v116, -v59
	v_mul_f16_sdwa v59, v22, v118 dst_sel:DWORD dst_unused:UNUSED_PAD src0_sel:WORD_1 src1_sel:DWORD
	;; [unrolled: 4-line block ×3, first 2 shown]
	v_fmac_f16_e32 v59, v22, v62
	v_mul_f16_sdwa v62, v19, v65 dst_sel:DWORD dst_unused:UNUSED_PAD src0_sel:WORD_1 src1_sel:DWORD
	v_lshrrev_b32_e32 v124, 16, v68
	v_fma_f16 v22, v22, v118, -v60
	v_mul_f16_sdwa v60, v20, v121 dst_sel:DWORD dst_unused:UNUSED_PAD src0_sel:WORD_1 src1_sel:DWORD
	v_fmac_f16_e32 v61, v19, v65
	v_mul_f16_sdwa v65, v20, v67 dst_sel:DWORD dst_unused:UNUSED_PAD src0_sel:WORD_1 src1_sel:DWORD
	v_fma_f16 v19, v19, v120, -v62
	v_mul_f16_sdwa v62, v17, v123 dst_sel:DWORD dst_unused:UNUSED_PAD src0_sel:WORD_1 src1_sel:DWORD
	v_lshrrev_b32_e32 v126, 16, v84
	v_lshrrev_b32_e32 v127, 16, v86
	v_fmac_f16_e32 v60, v20, v67
	v_mul_f16_sdwa v67, v17, v66 dst_sel:DWORD dst_unused:UNUSED_PAD src0_sel:WORD_1 src1_sel:DWORD
	v_fma_f16 v20, v20, v121, -v65
	v_mul_f16_sdwa v65, v18, v124 dst_sel:DWORD dst_unused:UNUSED_PAD src0_sel:WORD_1 src1_sel:DWORD
	v_fmac_f16_e32 v62, v17, v66
	v_mul_f16_sdwa v66, v18, v68 dst_sel:DWORD dst_unused:UNUSED_PAD src0_sel:WORD_1 src1_sel:DWORD
	v_lshrrev_b32_e32 v130, 16, v85
	v_fma_f16 v17, v17, v123, -v67
	v_mul_f16_sdwa v67, v15, v126 dst_sel:DWORD dst_unused:UNUSED_PAD src0_sel:WORD_1 src1_sel:DWORD
	v_fmac_f16_e32 v65, v18, v68
	v_mul_f16_sdwa v68, v15, v84 dst_sel:DWORD dst_unused:UNUSED_PAD src0_sel:WORD_1 src1_sel:DWORD
	v_fma_f16 v18, v18, v124, -v66
	v_mul_f16_sdwa v66, v16, v127 dst_sel:DWORD dst_unused:UNUSED_PAD src0_sel:WORD_1 src1_sel:DWORD
	v_lshrrev_b32_e32 v132, 16, v87
	v_fmac_f16_e32 v67, v15, v84
	v_mul_f16_sdwa v84, v16, v86 dst_sel:DWORD dst_unused:UNUSED_PAD src0_sel:WORD_1 src1_sel:DWORD
	v_fma_f16 v15, v15, v126, -v68
	v_mul_f16_sdwa v68, v13, v130 dst_sel:DWORD dst_unused:UNUSED_PAD src0_sel:WORD_1 src1_sel:DWORD
	v_fmac_f16_e32 v66, v16, v86
	v_mul_f16_sdwa v86, v13, v85 dst_sel:DWORD dst_unused:UNUSED_PAD src0_sel:WORD_1 src1_sel:DWORD
	v_lshrrev_b32_e32 v88, 16, v57
	v_fma_f16 v16, v16, v127, -v84
	v_mul_f16_sdwa v84, v14, v132 dst_sel:DWORD dst_unused:UNUSED_PAD src0_sel:WORD_1 src1_sel:DWORD
	v_fmac_f16_e32 v68, v13, v85
	v_mul_f16_sdwa v85, v14, v87 dst_sel:DWORD dst_unused:UNUSED_PAD src0_sel:WORD_1 src1_sel:DWORD
	v_fma_f16 v13, v13, v130, -v86
	v_add_f16_e32 v86, v129, v133
	v_fmac_f16_e32 v84, v14, v87
	v_add_f16_e32 v87, v57, v129
	v_fma_f16 v14, v14, v132, -v85
	v_add_f16_e32 v85, v23, v24
	v_fma_f16 v57, -0.5, v86, v57
	v_sub_f16_e32 v86, v23, v24
	v_add_f16_e32 v23, v88, v23
	v_lshrrev_b32_e32 v114, 16, v58
	v_fmac_f16_e32 v88, -0.5, v85
	v_sub_f16_e32 v85, v129, v133
	v_fmamk_f16 v116, v86, 0xbaee, v57
	v_add_f16_e32 v23, v23, v24
	v_add_f16_e32 v24, v115, v59
	v_fmac_f16_e32 v57, 0x3aee, v86
	v_fmamk_f16 v86, v85, 0x3aee, v88
	v_add_f16_e32 v117, v58, v115
	v_fmac_f16_e32 v88, 0xbaee, v85
	v_add_f16_e32 v85, v21, v22
	v_fmac_f16_e32 v58, -0.5, v24
	v_sub_f16_e32 v24, v21, v22
	v_add_f16_e32 v21, v114, v21
	v_lshrrev_b32_e32 v119, 16, v63
	v_add_f16_e32 v117, v117, v59
	v_fmac_f16_e32 v114, -0.5, v85
	v_sub_f16_e32 v59, v115, v59
	v_add_f16_e32 v21, v21, v22
	v_add_f16_e32 v22, v61, v60
	v_fmamk_f16 v85, v24, 0xbaee, v58
	v_fmac_f16_e32 v58, 0x3aee, v24
	v_fmamk_f16 v24, v59, 0x3aee, v114
	v_add_f16_e32 v115, v63, v61
	v_fmac_f16_e32 v114, 0xbaee, v59
	v_add_f16_e32 v59, v19, v20
	v_fma_f16 v22, -0.5, v22, v63
	v_sub_f16_e32 v63, v19, v20
	v_add_f16_e32 v19, v119, v19
	v_lshrrev_b32_e32 v122, 16, v64
	v_fmac_f16_e32 v119, -0.5, v59
	v_sub_f16_e32 v59, v61, v60
	v_add_f16_e32 v115, v115, v60
	v_add_f16_e32 v19, v19, v20
	;; [unrolled: 1-line block ×3, first 2 shown]
	v_fmamk_f16 v60, v63, 0xbaee, v22
	v_fmac_f16_e32 v22, 0x3aee, v63
	v_fmamk_f16 v61, v59, 0x3aee, v119
	v_add_f16_e32 v63, v64, v62
	v_fmac_f16_e32 v119, 0xbaee, v59
	v_add_f16_e32 v59, v17, v18
	v_fmac_f16_e32 v64, -0.5, v20
	v_sub_f16_e32 v20, v17, v18
	v_add_f16_e32 v17, v122, v17
	v_lshrrev_b32_e32 v125, 16, v82
	v_fmac_f16_e32 v122, -0.5, v59
	v_sub_f16_e32 v59, v62, v65
	v_add_f16_e32 v63, v63, v65
	v_add_f16_e32 v17, v17, v18
	;; [unrolled: 1-line block ×3, first 2 shown]
	v_fmamk_f16 v62, v20, 0xbaee, v64
	v_fmac_f16_e32 v64, 0x3aee, v20
	v_fmamk_f16 v20, v59, 0x3aee, v122
	v_add_f16_e32 v65, v82, v67
	v_fmac_f16_e32 v122, 0xbaee, v59
	v_add_f16_e32 v59, v15, v16
	v_fma_f16 v18, -0.5, v18, v82
	v_sub_f16_e32 v82, v15, v16
	v_add_f16_e32 v15, v125, v15
	v_lshrrev_b32_e32 v128, 16, v83
	v_fmac_f16_e32 v125, -0.5, v59
	v_sub_f16_e32 v59, v67, v66
	v_add_f16_e32 v87, v87, v133
	v_add_f16_e32 v15, v15, v16
	;; [unrolled: 1-line block ×4, first 2 shown]
	v_fmamk_f16 v66, v82, 0xbaee, v18
	v_fmac_f16_e32 v18, 0x3aee, v82
	v_fmamk_f16 v67, v59, 0x3aee, v125
	v_fmac_f16_e32 v125, 0xbaee, v59
	v_add_f16_e32 v59, v13, v14
	v_add_f16_e32 v82, v83, v68
	v_fmac_f16_e32 v83, -0.5, v16
	v_sub_f16_e32 v16, v13, v14
	v_add_f16_e32 v13, v128, v13
	v_fmac_f16_e32 v128, -0.5, v59
	v_sub_f16_e32 v59, v68, v84
	v_add_f16_e32 v68, v82, v84
	v_fmamk_f16 v82, v16, 0xbaee, v83
	v_fmac_f16_e32 v83, 0x3aee, v16
	v_pack_b32_f16 v16, v87, v23
	v_pack_b32_f16 v23, v116, v86
	;; [unrolled: 1-line block ×3, first 2 shown]
	ds_write2_b32 v94, v16, v23 offset1:11
	ds_write_b32 v94, v57 offset:88
	v_pack_b32_f16 v16, v117, v21
	v_pack_b32_f16 v21, v85, v24
	;; [unrolled: 1-line block ×5, first 2 shown]
	v_add_f16_e32 v13, v13, v14
	v_fmamk_f16 v14, v59, 0x3aee, v128
	v_pack_b32_f16 v22, v22, v119
	v_fmac_f16_e32 v128, 0xbaee, v59
	v_pack_b32_f16 v17, v63, v17
	v_pack_b32_f16 v20, v62, v20
	ds_write2_b32 v93, v16, v21 offset1:11
	ds_write_b32 v93, v23 offset:88
	ds_write2_b32 v92, v19, v24 offset1:11
	ds_write_b32 v92, v22 offset:88
	ds_write2_b32 v91, v17, v20 offset1:11
	v_pack_b32_f16 v16, v64, v122
	v_pack_b32_f16 v15, v65, v15
	;; [unrolled: 1-line block ×7, first 2 shown]
	ds_write_b32 v91, v16 offset:88
	ds_write2_b32 v90, v15, v17 offset1:11
	ds_write_b32 v90, v18 offset:88
	ds_write2_b32 v89, v13, v14 offset1:11
	ds_write_b32 v89, v19 offset:88
	s_waitcnt lgkmcnt(0)
	s_barrier
	buffer_gl0_inv
	ds_read2_b32 v[13:14], v69 offset1:99
	ds_read2_b32 v[15:16], v12 offset0:82 offset1:181
	ds_read2_b32 v[17:18], v54 offset0:36 offset1:135
	;; [unrolled: 1-line block ×8, first 2 shown]
	s_waitcnt lgkmcnt(0)
	s_barrier
	buffer_gl0_inv
	v_lshrrev_b32_e32 v63, 16, v13
	v_lshrrev_b32_e32 v64, 16, v15
	v_lshrrev_b32_e32 v65, 16, v17
	v_lshrrev_b32_e32 v67, 16, v16
	v_mul_f16_sdwa v94, v35, v15 dst_sel:DWORD dst_unused:UNUSED_PAD src0_sel:WORD_1 src1_sel:DWORD
	v_lshrrev_b32_e32 v68, 16, v18
	v_mul_f16_sdwa v92, v35, v64 dst_sel:DWORD dst_unused:UNUSED_PAD src0_sel:WORD_1 src1_sel:DWORD
	v_mul_f16_sdwa v115, v36, v65 dst_sel:DWORD dst_unused:UNUSED_PAD src0_sel:WORD_1 src1_sel:DWORD
	v_lshrrev_b32_e32 v83, 16, v21
	v_lshrrev_b32_e32 v84, 16, v23
	;; [unrolled: 1-line block ×3, first 2 shown]
	v_fmac_f16_e32 v92, v35, v15
	v_mul_f16_sdwa v15, v36, v17 dst_sel:DWORD dst_unused:UNUSED_PAD src0_sel:WORD_1 src1_sel:DWORD
	v_fma_f16 v35, v35, v64, -v94
	v_mul_f16_sdwa v64, v33, v67 dst_sel:DWORD dst_unused:UNUSED_PAD src0_sel:WORD_1 src1_sel:DWORD
	v_fmac_f16_e32 v115, v36, v17
	v_mul_f16_sdwa v17, v33, v16 dst_sel:DWORD dst_unused:UNUSED_PAD src0_sel:WORD_1 src1_sel:DWORD
	v_fma_f16 v15, v36, v65, -v15
	v_mul_f16_sdwa v36, v34, v68 dst_sel:DWORD dst_unused:UNUSED_PAD src0_sel:WORD_1 src1_sel:DWORD
	;; [unrolled: 4-line block ×3, first 2 shown]
	v_lshrrev_b32_e32 v87, 16, v24
	v_fmac_f16_e32 v36, v34, v18
	v_mul_f16_sdwa v18, v31, v21 dst_sel:DWORD dst_unused:UNUSED_PAD src0_sel:WORD_1 src1_sel:DWORD
	v_fma_f16 v16, v34, v68, -v16
	v_mul_f16_sdwa v34, v32, v84 dst_sel:DWORD dst_unused:UNUSED_PAD src0_sel:WORD_1 src1_sel:DWORD
	v_fmac_f16_e32 v33, v31, v21
	v_mul_f16_sdwa v21, v32, v23 dst_sel:DWORD dst_unused:UNUSED_PAD src0_sel:WORD_1 src1_sel:DWORD
	v_lshrrev_b32_e32 v89, 16, v59
	v_fma_f16 v18, v31, v83, -v18
	v_mul_f16_sdwa v31, v29, v86 dst_sel:DWORD dst_unused:UNUSED_PAD src0_sel:WORD_1 src1_sel:DWORD
	v_fmac_f16_e32 v34, v32, v23
	v_mul_f16_sdwa v23, v29, v22 dst_sel:DWORD dst_unused:UNUSED_PAD src0_sel:WORD_1 src1_sel:DWORD
	v_fma_f16 v21, v32, v84, -v21
	v_mul_f16_sdwa v32, v30, v87 dst_sel:DWORD dst_unused:UNUSED_PAD src0_sel:WORD_1 src1_sel:DWORD
	v_lshrrev_b32_e32 v90, 16, v61
	v_lshrrev_b32_e32 v93, 16, v60
	v_fmac_f16_e32 v31, v29, v22
	v_mul_f16_sdwa v22, v30, v24 dst_sel:DWORD dst_unused:UNUSED_PAD src0_sel:WORD_1 src1_sel:DWORD
	v_fma_f16 v23, v29, v86, -v23
	v_mul_f16_sdwa v29, v27, v89 dst_sel:DWORD dst_unused:UNUSED_PAD src0_sel:WORD_1 src1_sel:DWORD
	v_fmac_f16_e32 v32, v30, v24
	v_mul_f16_sdwa v24, v27, v59 dst_sel:DWORD dst_unused:UNUSED_PAD src0_sel:WORD_1 src1_sel:DWORD
	v_lshrrev_b32_e32 v114, 16, v62
	v_fma_f16 v22, v30, v87, -v22
	v_mul_f16_sdwa v30, v28, v90 dst_sel:DWORD dst_unused:UNUSED_PAD src0_sel:WORD_1 src1_sel:DWORD
	v_fmac_f16_e32 v29, v27, v59
	v_mul_f16_sdwa v59, v28, v61 dst_sel:DWORD dst_unused:UNUSED_PAD src0_sel:WORD_1 src1_sel:DWORD
	v_fma_f16 v24, v27, v89, -v24
	v_mul_f16_sdwa v27, v25, v93 dst_sel:DWORD dst_unused:UNUSED_PAD src0_sel:WORD_1 src1_sel:DWORD
	v_fmac_f16_e32 v30, v28, v61
	v_mul_f16_sdwa v61, v25, v60 dst_sel:DWORD dst_unused:UNUSED_PAD src0_sel:WORD_1 src1_sel:DWORD
	;; [unrolled: 4-line block ×3, first 2 shown]
	v_fma_f16 v25, v25, v93, -v61
	v_add_f16_e32 v61, v92, v115
	v_fmac_f16_e32 v59, v26, v62
	v_add_f16_e32 v62, v13, v92
	v_fma_f16 v26, v26, v114, -v60
	v_add_f16_e32 v60, v35, v15
	v_fma_f16 v13, -0.5, v61, v13
	v_sub_f16_e32 v61, v35, v15
	v_add_f16_e32 v35, v63, v35
	v_lshrrev_b32_e32 v66, 16, v14
	v_fmac_f16_e32 v63, -0.5, v60
	v_sub_f16_e32 v60, v92, v115
	v_fmamk_f16 v65, v61, 0xbaee, v13
	v_fmac_f16_e32 v13, 0x3aee, v61
	v_add_f16_e32 v15, v35, v15
	v_add_f16_e32 v35, v64, v36
	v_fmamk_f16 v61, v60, 0x3aee, v63
	v_add_f16_e32 v67, v14, v64
	v_fmac_f16_e32 v63, 0xbaee, v60
	v_add_f16_e32 v60, v17, v16
	v_fmac_f16_e32 v14, -0.5, v35
	v_sub_f16_e32 v35, v17, v16
	v_add_f16_e32 v67, v67, v36
	v_add_f16_e32 v17, v66, v17
	v_fmac_f16_e32 v66, -0.5, v60
	v_sub_f16_e32 v36, v64, v36
	v_lshrrev_b32_e32 v82, 16, v19
	v_fmamk_f16 v60, v35, 0xbaee, v14
	v_fmac_f16_e32 v14, 0x3aee, v35
	v_add_f16_e32 v16, v17, v16
	v_add_f16_e32 v17, v33, v34
	v_fmamk_f16 v35, v36, 0x3aee, v66
	v_fmac_f16_e32 v66, 0xbaee, v36
	v_add_f16_e32 v36, v18, v21
	v_add_f16_e32 v64, v19, v33
	v_fma_f16 v17, -0.5, v17, v19
	v_sub_f16_e32 v19, v18, v21
	v_add_f16_e32 v18, v82, v18
	v_fmac_f16_e32 v82, -0.5, v36
	v_sub_f16_e32 v33, v33, v34
	v_lshrrev_b32_e32 v85, 16, v20
	v_add_f16_e32 v64, v64, v34
	v_fmamk_f16 v34, v19, 0xbaee, v17
	v_fmac_f16_e32 v17, 0x3aee, v19
	v_add_f16_e32 v18, v18, v21
	v_add_f16_e32 v19, v31, v32
	v_fmamk_f16 v21, v33, 0x3aee, v82
	v_fmac_f16_e32 v82, 0xbaee, v33
	v_add_f16_e32 v33, v23, v22
	v_add_f16_e32 v36, v20, v31
	v_fmac_f16_e32 v20, -0.5, v19
	v_sub_f16_e32 v19, v23, v22
	v_add_f16_e32 v23, v85, v23
	v_fmac_f16_e32 v85, -0.5, v33
	v_sub_f16_e32 v31, v31, v32
	v_lshrrev_b32_e32 v88, 16, v57
	v_add_f16_e32 v36, v36, v32
	v_fmamk_f16 v32, v19, 0xbaee, v20
	v_fmac_f16_e32 v20, 0x3aee, v19
	v_add_f16_e32 v19, v23, v22
	v_add_f16_e32 v22, v29, v30
	v_fmamk_f16 v23, v31, 0x3aee, v85
	v_fmac_f16_e32 v85, 0xbaee, v31
	v_add_f16_e32 v31, v24, v28
	v_add_f16_e32 v33, v57, v29
	v_fma_f16 v22, -0.5, v22, v57
	v_sub_f16_e32 v57, v24, v28
	v_add_f16_e32 v24, v88, v24
	v_fmac_f16_e32 v88, -0.5, v31
	v_sub_f16_e32 v29, v29, v30
	v_lshrrev_b32_e32 v91, 16, v58
	v_add_f16_e32 v62, v62, v115
	v_add_f16_e32 v24, v24, v28
	;; [unrolled: 1-line block ×3, first 2 shown]
	v_fmamk_f16 v31, v29, 0x3aee, v88
	v_fmac_f16_e32 v88, 0xbaee, v29
	v_add_f16_e32 v29, v25, v26
	v_add_f16_e32 v33, v33, v30
	v_fmamk_f16 v30, v57, 0xbaee, v22
	v_fmac_f16_e32 v22, 0x3aee, v57
	v_add_f16_e32 v57, v58, v27
	v_fmac_f16_e32 v58, -0.5, v28
	v_sub_f16_e32 v28, v25, v26
	v_add_f16_e32 v25, v91, v25
	v_fmac_f16_e32 v91, -0.5, v29
	v_sub_f16_e32 v27, v27, v59
	v_pack_b32_f16 v15, v62, v15
	v_pack_b32_f16 v13, v13, v63
	v_add_f16_e32 v25, v25, v26
	v_pack_b32_f16 v14, v14, v66
	v_fmamk_f16 v26, v27, 0x3aee, v91
	v_fmac_f16_e32 v91, 0xbaee, v27
	v_pack_b32_f16 v27, v65, v61
	ds_write2_b32 v100, v15, v27 offset1:33
	ds_write_b32 v100, v13 offset:264
	v_pack_b32_f16 v13, v67, v16
	v_pack_b32_f16 v15, v60, v35
	;; [unrolled: 1-line block ×4, first 2 shown]
	v_add_f16_e32 v29, v57, v59
	v_fmamk_f16 v57, v28, 0xbaee, v58
	v_pack_b32_f16 v17, v17, v82
	v_fmac_f16_e32 v58, 0x3aee, v28
	v_pack_b32_f16 v19, v36, v19
	v_pack_b32_f16 v21, v32, v23
	ds_write2_b32 v98, v13, v15 offset1:33
	ds_write_b32 v98, v14 offset:264
	ds_write2_b32 v99, v16, v18 offset1:33
	ds_write_b32 v99, v17 offset:264
	ds_write2_b32 v95, v19, v21 offset1:33
	v_pack_b32_f16 v13, v20, v85
	v_pack_b32_f16 v14, v33, v24
	;; [unrolled: 1-line block ×7, first 2 shown]
	ds_write_b32 v95, v13 offset:264
	ds_write2_b32 v96, v14, v15 offset1:33
	ds_write_b32 v96, v16 offset:264
	ds_write2_b32 v97, v17, v18 offset1:33
	ds_write_b32 v97, v19 offset:264
	s_waitcnt lgkmcnt(0)
	s_barrier
	buffer_gl0_inv
	ds_read2_b32 v[13:14], v69 offset1:99
	ds_read2_b32 v[15:16], v12 offset0:82 offset1:181
	ds_read2_b32 v[17:18], v54 offset0:36 offset1:135
	;; [unrolled: 1-line block ×8, first 2 shown]
	s_waitcnt lgkmcnt(0)
	s_barrier
	buffer_gl0_inv
	v_lshrrev_b32_e32 v31, 16, v13
	v_lshrrev_b32_e32 v32, 16, v15
	;; [unrolled: 1-line block ×5, first 2 shown]
	v_mul_f16_sdwa v82, v45, v15 dst_sel:DWORD dst_unused:UNUSED_PAD src0_sel:WORD_1 src1_sel:DWORD
	v_mul_f16_sdwa v67, v45, v32 dst_sel:DWORD dst_unused:UNUSED_PAD src0_sel:WORD_1 src1_sel:DWORD
	;; [unrolled: 1-line block ×3, first 2 shown]
	v_lshrrev_b32_e32 v58, 16, v21
	v_lshrrev_b32_e32 v59, 16, v23
	v_fma_f16 v32, v45, v32, -v82
	v_fmac_f16_e32 v67, v45, v15
	v_mul_f16_sdwa v15, v46, v17 dst_sel:DWORD dst_unused:UNUSED_PAD src0_sel:WORD_1 src1_sel:DWORD
	v_mul_f16_sdwa v82, v45, v35 dst_sel:DWORD dst_unused:UNUSED_PAD src0_sel:WORD_1 src1_sel:DWORD
	v_fmac_f16_e32 v84, v46, v17
	v_mul_f16_sdwa v17, v45, v16 dst_sel:DWORD dst_unused:UNUSED_PAD src0_sel:WORD_1 src1_sel:DWORD
	v_lshrrev_b32_e32 v61, 16, v22
	v_fma_f16 v15, v46, v33, -v15
	v_mul_f16_sdwa v33, v46, v36 dst_sel:DWORD dst_unused:UNUSED_PAD src0_sel:WORD_1 src1_sel:DWORD
	v_fmac_f16_e32 v82, v45, v16
	v_mul_f16_sdwa v16, v46, v18 dst_sel:DWORD dst_unused:UNUSED_PAD src0_sel:WORD_1 src1_sel:DWORD
	v_fma_f16 v17, v45, v35, -v17
	v_mul_f16_sdwa v35, v43, v58 dst_sel:DWORD dst_unused:UNUSED_PAD src0_sel:WORD_1 src1_sel:DWORD
	v_fmac_f16_e32 v33, v46, v18
	v_mul_f16_sdwa v18, v43, v21 dst_sel:DWORD dst_unused:UNUSED_PAD src0_sel:WORD_1 src1_sel:DWORD
	v_lshrrev_b32_e32 v62, 16, v24
	v_fma_f16 v16, v46, v36, -v16
	v_mul_f16_sdwa v36, v44, v59 dst_sel:DWORD dst_unused:UNUSED_PAD src0_sel:WORD_1 src1_sel:DWORD
	v_fmac_f16_e32 v35, v43, v21
	v_mul_f16_sdwa v21, v44, v23 dst_sel:DWORD dst_unused:UNUSED_PAD src0_sel:WORD_1 src1_sel:DWORD
	v_fma_f16 v18, v43, v58, -v18
	v_mul_f16_sdwa v43, v41, v61 dst_sel:DWORD dst_unused:UNUSED_PAD src0_sel:WORD_1 src1_sel:DWORD
	v_lshrrev_b32_e32 v64, 16, v27
	v_lshrrev_b32_e32 v65, 16, v29
	v_fmac_f16_e32 v36, v44, v23
	v_mul_f16_sdwa v23, v41, v22 dst_sel:DWORD dst_unused:UNUSED_PAD src0_sel:WORD_1 src1_sel:DWORD
	v_fma_f16 v21, v44, v59, -v21
	v_mul_f16_sdwa v44, v42, v62 dst_sel:DWORD dst_unused:UNUSED_PAD src0_sel:WORD_1 src1_sel:DWORD
	v_fmac_f16_e32 v43, v41, v22
	v_mul_f16_sdwa v22, v42, v24 dst_sel:DWORD dst_unused:UNUSED_PAD src0_sel:WORD_1 src1_sel:DWORD
	v_lshrrev_b32_e32 v68, 16, v28
	v_fma_f16 v23, v41, v61, -v23
	v_mul_f16_sdwa v41, v39, v64 dst_sel:DWORD dst_unused:UNUSED_PAD src0_sel:WORD_1 src1_sel:DWORD
	v_fmac_f16_e32 v44, v42, v24
	v_mul_f16_sdwa v24, v39, v27 dst_sel:DWORD dst_unused:UNUSED_PAD src0_sel:WORD_1 src1_sel:DWORD
	v_fma_f16 v22, v42, v62, -v22
	v_mul_f16_sdwa v42, v40, v65 dst_sel:DWORD dst_unused:UNUSED_PAD src0_sel:WORD_1 src1_sel:DWORD
	v_lshrrev_b32_e32 v83, 16, v30
	v_fmac_f16_e32 v41, v39, v27
	v_mul_f16_sdwa v27, v40, v29 dst_sel:DWORD dst_unused:UNUSED_PAD src0_sel:WORD_1 src1_sel:DWORD
	v_fma_f16 v24, v39, v64, -v24
	v_mul_f16_sdwa v39, v37, v68 dst_sel:DWORD dst_unused:UNUSED_PAD src0_sel:WORD_1 src1_sel:DWORD
	v_fmac_f16_e32 v42, v40, v29
	v_mul_f16_sdwa v29, v37, v28 dst_sel:DWORD dst_unused:UNUSED_PAD src0_sel:WORD_1 src1_sel:DWORD
	v_fma_f16 v27, v40, v65, -v27
	v_mul_f16_sdwa v40, v38, v83 dst_sel:DWORD dst_unused:UNUSED_PAD src0_sel:WORD_1 src1_sel:DWORD
	v_fmac_f16_e32 v39, v37, v28
	v_mul_f16_sdwa v28, v38, v30 dst_sel:DWORD dst_unused:UNUSED_PAD src0_sel:WORD_1 src1_sel:DWORD
	v_fma_f16 v29, v37, v68, -v29
	v_add_f16_e32 v37, v67, v84
	v_fmac_f16_e32 v40, v38, v30
	v_add_f16_e32 v30, v13, v67
	v_fma_f16 v28, v38, v83, -v28
	v_add_f16_e32 v38, v32, v15
	v_fma_f16 v13, -0.5, v37, v13
	v_sub_f16_e32 v37, v32, v15
	v_add_f16_e32 v32, v31, v32
	v_lshrrev_b32_e32 v34, 16, v14
	v_fmac_f16_e32 v31, -0.5, v38
	v_sub_f16_e32 v38, v67, v84
	v_fmamk_f16 v45, v37, 0xbaee, v13
	v_add_f16_e32 v15, v32, v15
	v_add_f16_e32 v32, v82, v33
	v_fmac_f16_e32 v13, 0x3aee, v37
	v_fmamk_f16 v37, v38, 0x3aee, v31
	v_add_f16_e32 v46, v14, v82
	v_fmac_f16_e32 v31, 0xbaee, v38
	v_add_f16_e32 v38, v17, v16
	v_fmac_f16_e32 v14, -0.5, v32
	v_sub_f16_e32 v32, v17, v16
	v_add_f16_e32 v17, v34, v17
	v_add_f16_e32 v46, v46, v33
	v_fmac_f16_e32 v34, -0.5, v38
	v_sub_f16_e32 v33, v82, v33
	v_lshrrev_b32_e32 v57, 16, v19
	v_add_f16_e32 v16, v17, v16
	v_add_f16_e32 v17, v35, v36
	v_fmamk_f16 v38, v32, 0xbaee, v14
	v_fmac_f16_e32 v14, 0x3aee, v32
	v_fmamk_f16 v32, v33, 0x3aee, v34
	v_add_f16_e32 v58, v19, v35
	v_fmac_f16_e32 v34, 0xbaee, v33
	v_add_f16_e32 v33, v18, v21
	v_fma_f16 v17, -0.5, v17, v19
	v_sub_f16_e32 v19, v18, v21
	v_lshrrev_b32_e32 v60, 16, v20
	v_add_f16_e32 v18, v57, v18
	v_fmac_f16_e32 v57, -0.5, v33
	v_sub_f16_e32 v33, v35, v36
	v_fmamk_f16 v35, v19, 0xbaee, v17
	v_fmac_f16_e32 v17, 0x3aee, v19
	v_add_f16_e32 v19, v43, v44
	v_add_f16_e32 v58, v58, v36
	;; [unrolled: 1-line block ×3, first 2 shown]
	v_fmamk_f16 v21, v33, 0x3aee, v57
	v_add_f16_e32 v36, v20, v43
	v_fmac_f16_e32 v57, 0xbaee, v33
	v_add_f16_e32 v33, v23, v22
	v_fmac_f16_e32 v20, -0.5, v19
	v_sub_f16_e32 v19, v23, v22
	v_add_f16_e32 v23, v60, v23
	v_lshrrev_b32_e32 v63, 16, v25
	v_fmac_f16_e32 v60, -0.5, v33
	v_sub_f16_e32 v33, v43, v44
	v_fmamk_f16 v43, v19, 0xbaee, v20
	v_fmac_f16_e32 v20, 0x3aee, v19
	v_add_f16_e32 v19, v23, v22
	v_add_f16_e32 v22, v41, v42
	;; [unrolled: 1-line block ×3, first 2 shown]
	v_fmamk_f16 v23, v33, 0x3aee, v60
	v_add_f16_e32 v44, v25, v41
	v_fmac_f16_e32 v60, 0xbaee, v33
	v_add_f16_e32 v33, v24, v27
	v_fma_f16 v22, -0.5, v22, v25
	v_sub_f16_e32 v25, v24, v27
	v_lshrrev_b32_e32 v66, 16, v26
	v_add_f16_e32 v24, v63, v24
	v_fmac_f16_e32 v63, -0.5, v33
	v_sub_f16_e32 v33, v41, v42
	v_fmamk_f16 v41, v25, 0xbaee, v22
	v_fmac_f16_e32 v22, 0x3aee, v25
	v_add_f16_e32 v25, v39, v40
	v_add_f16_e32 v30, v30, v84
	;; [unrolled: 1-line block ×4, first 2 shown]
	v_fmamk_f16 v27, v33, 0x3aee, v63
	v_fmac_f16_e32 v63, 0xbaee, v33
	v_add_f16_e32 v33, v29, v28
	v_add_f16_e32 v42, v26, v39
	v_fmac_f16_e32 v26, -0.5, v25
	v_sub_f16_e32 v25, v29, v28
	v_add_f16_e32 v29, v66, v29
	v_fmac_f16_e32 v66, -0.5, v33
	v_sub_f16_e32 v33, v39, v40
	v_add_f16_e32 v39, v42, v40
	v_fmamk_f16 v40, v25, 0xbaee, v26
	v_fmac_f16_e32 v26, 0x3aee, v25
	v_add_f16_e32 v25, v29, v28
	v_pack_b32_f16 v15, v30, v15
	v_pack_b32_f16 v29, v45, v37
	;; [unrolled: 1-line block ×6, first 2 shown]
	ds_write2_b32 v69, v15, v29 offset1:99
	v_pack_b32_f16 v15, v46, v16
	v_pack_b32_f16 v16, v38, v32
	v_add_nc_u32_e32 v29, 0x800, v104
	v_fmamk_f16 v28, v33, 0x3aee, v66
	v_pack_b32_f16 v17, v17, v57
	v_fmac_f16_e32 v66, 0xbaee, v33
	v_pack_b32_f16 v19, v36, v19
	v_pack_b32_f16 v23, v43, v23
	v_add_nc_u32_e32 v30, 0xc00, v102
	ds_write2_b32 v55, v13, v15 offset0:70 offset1:169
	ds_write2_b32 v11, v16, v14 offset0:140 offset1:239
	;; [unrolled: 1-line block ×3, first 2 shown]
	ds_write_b32 v104, v17 offset:3168
	ds_write2_b32 v30, v19, v23 offset0:123 offset1:222
	v_pack_b32_f16 v13, v20, v60
	v_pack_b32_f16 v14, v44, v24
	;; [unrolled: 1-line block ×3, first 2 shown]
	v_add_nc_u32_e32 v16, 0x1200, v101
	v_pack_b32_f16 v17, v22, v63
	v_pack_b32_f16 v18, v39, v25
	;; [unrolled: 1-line block ×3, first 2 shown]
	v_add_nc_u32_e32 v20, 0x1600, v103
	v_pack_b32_f16 v21, v26, v66
	ds_write_b32 v102, v13 offset:4356
	ds_write2_b32 v16, v14, v15 offset0:36 offset1:135
	ds_write_b32 v101, v17 offset:5544
	ds_write2_b32 v20, v18, v19 offset0:77 offset1:176
	ds_write_b32 v103, v21 offset:6732
	s_waitcnt lgkmcnt(0)
	s_barrier
	buffer_gl0_inv
	ds_read2_b32 v[13:14], v69 offset1:99
	ds_read2_b32 v[15:16], v12 offset0:82 offset1:181
	ds_read2_b32 v[17:18], v54 offset0:36 offset1:135
	;; [unrolled: 1-line block ×8, first 2 shown]
	s_waitcnt lgkmcnt(0)
	s_barrier
	buffer_gl0_inv
	v_lshrrev_b32_e32 v31, 16, v13
	v_lshrrev_b32_e32 v32, 16, v15
	;; [unrolled: 1-line block ×4, first 2 shown]
	v_mul_f16_sdwa v59, v51, v15 dst_sel:DWORD dst_unused:UNUSED_PAD src0_sel:WORD_1 src1_sel:DWORD
	v_lshrrev_b32_e32 v36, 16, v18
	v_mul_f16_sdwa v57, v51, v32 dst_sel:DWORD dst_unused:UNUSED_PAD src0_sel:WORD_1 src1_sel:DWORD
	v_mul_f16_sdwa v61, v52, v33 dst_sel:DWORD dst_unused:UNUSED_PAD src0_sel:WORD_1 src1_sel:DWORD
	v_lshrrev_b32_e32 v38, 16, v21
	v_fma_f16 v32, v51, v32, -v59
	v_mul_f16_sdwa v59, v49, v35 dst_sel:DWORD dst_unused:UNUSED_PAD src0_sel:WORD_1 src1_sel:DWORD
	v_fmac_f16_e32 v57, v51, v15
	v_mul_f16_sdwa v15, v52, v17 dst_sel:DWORD dst_unused:UNUSED_PAD src0_sel:WORD_1 src1_sel:DWORD
	v_fmac_f16_e32 v61, v52, v17
	v_mul_f16_sdwa v17, v49, v16 dst_sel:DWORD dst_unused:UNUSED_PAD src0_sel:WORD_1 src1_sel:DWORD
	v_lshrrev_b32_e32 v39, 16, v23
	v_fmac_f16_e32 v59, v49, v16
	v_fma_f16 v15, v52, v33, -v15
	v_mul_f16_sdwa v33, v50, v36 dst_sel:DWORD dst_unused:UNUSED_PAD src0_sel:WORD_1 src1_sel:DWORD
	v_mul_f16_sdwa v16, v50, v18 dst_sel:DWORD dst_unused:UNUSED_PAD src0_sel:WORD_1 src1_sel:DWORD
	v_fma_f16 v17, v49, v35, -v17
	v_mul_f16_sdwa v35, v47, v38 dst_sel:DWORD dst_unused:UNUSED_PAD src0_sel:WORD_1 src1_sel:DWORD
	v_lshrrev_b32_e32 v41, 16, v22
	v_fmac_f16_e32 v33, v50, v18
	v_mul_f16_sdwa v18, v47, v21 dst_sel:DWORD dst_unused:UNUSED_PAD src0_sel:WORD_1 src1_sel:DWORD
	v_lshrrev_b32_e32 v42, 16, v24
	v_fma_f16 v16, v50, v36, -v16
	v_mul_f16_sdwa v36, v48, v39 dst_sel:DWORD dst_unused:UNUSED_PAD src0_sel:WORD_1 src1_sel:DWORD
	v_fmac_f16_e32 v35, v47, v21
	v_mul_f16_sdwa v21, v48, v23 dst_sel:DWORD dst_unused:UNUSED_PAD src0_sel:WORD_1 src1_sel:DWORD
	v_fma_f16 v18, v47, v38, -v18
	v_mul_f16_sdwa v38, v51, v41 dst_sel:DWORD dst_unused:UNUSED_PAD src0_sel:WORD_1 src1_sel:DWORD
	v_lshrrev_b32_e32 v44, 16, v27
	v_fmac_f16_e32 v36, v48, v23
	v_mul_f16_sdwa v23, v51, v22 dst_sel:DWORD dst_unused:UNUSED_PAD src0_sel:WORD_1 src1_sel:DWORD
	v_fma_f16 v21, v48, v39, -v21
	v_mul_f16_sdwa v39, v52, v42 dst_sel:DWORD dst_unused:UNUSED_PAD src0_sel:WORD_1 src1_sel:DWORD
	v_lshrrev_b32_e32 v45, 16, v29
	v_fmac_f16_e32 v38, v51, v22
	v_mul_f16_sdwa v22, v52, v24 dst_sel:DWORD dst_unused:UNUSED_PAD src0_sel:WORD_1 src1_sel:DWORD
	v_lshrrev_b32_e32 v58, 16, v28
	v_fma_f16 v23, v51, v41, -v23
	v_mul_f16_sdwa v41, v49, v44 dst_sel:DWORD dst_unused:UNUSED_PAD src0_sel:WORD_1 src1_sel:DWORD
	v_fmac_f16_e32 v39, v52, v24
	v_mul_f16_sdwa v24, v49, v27 dst_sel:DWORD dst_unused:UNUSED_PAD src0_sel:WORD_1 src1_sel:DWORD
	v_fma_f16 v22, v52, v42, -v22
	v_mul_f16_sdwa v42, v50, v45 dst_sel:DWORD dst_unused:UNUSED_PAD src0_sel:WORD_1 src1_sel:DWORD
	v_lshrrev_b32_e32 v60, 16, v30
	v_fmac_f16_e32 v41, v49, v27
	v_mul_f16_sdwa v27, v50, v29 dst_sel:DWORD dst_unused:UNUSED_PAD src0_sel:WORD_1 src1_sel:DWORD
	v_fma_f16 v24, v49, v44, -v24
	v_mul_f16_sdwa v44, v47, v58 dst_sel:DWORD dst_unused:UNUSED_PAD src0_sel:WORD_1 src1_sel:DWORD
	v_fmac_f16_e32 v42, v50, v29
	v_mul_f16_sdwa v29, v47, v28 dst_sel:DWORD dst_unused:UNUSED_PAD src0_sel:WORD_1 src1_sel:DWORD
	v_fma_f16 v27, v50, v45, -v27
	v_mul_f16_sdwa v45, v48, v60 dst_sel:DWORD dst_unused:UNUSED_PAD src0_sel:WORD_1 src1_sel:DWORD
	v_fmac_f16_e32 v44, v47, v28
	v_mul_f16_sdwa v28, v48, v30 dst_sel:DWORD dst_unused:UNUSED_PAD src0_sel:WORD_1 src1_sel:DWORD
	v_fma_f16 v29, v47, v58, -v29
	v_add_f16_e32 v47, v57, v61
	v_fmac_f16_e32 v45, v48, v30
	v_add_f16_e32 v30, v13, v57
	v_fma_f16 v28, v48, v60, -v28
	v_add_f16_e32 v48, v32, v15
	v_fma_f16 v13, -0.5, v47, v13
	v_sub_f16_e32 v47, v32, v15
	v_add_f16_e32 v32, v31, v32
	v_lshrrev_b32_e32 v34, 16, v14
	v_fmac_f16_e32 v31, -0.5, v48
	v_sub_f16_e32 v48, v57, v61
	v_fmamk_f16 v49, v47, 0xbaee, v13
	v_add_f16_e32 v15, v32, v15
	v_add_f16_e32 v32, v59, v33
	v_fmac_f16_e32 v13, 0x3aee, v47
	v_fmamk_f16 v47, v48, 0x3aee, v31
	v_add_f16_e32 v50, v14, v59
	v_fmac_f16_e32 v31, 0xbaee, v48
	v_add_f16_e32 v48, v17, v16
	v_fmac_f16_e32 v14, -0.5, v32
	v_sub_f16_e32 v32, v17, v16
	v_add_f16_e32 v17, v34, v17
	v_add_f16_e32 v50, v50, v33
	v_fmac_f16_e32 v34, -0.5, v48
	v_sub_f16_e32 v33, v59, v33
	v_lshrrev_b32_e32 v37, 16, v19
	v_add_f16_e32 v16, v17, v16
	v_add_f16_e32 v17, v35, v36
	v_fmamk_f16 v48, v32, 0xbaee, v14
	v_fmac_f16_e32 v14, 0x3aee, v32
	v_fmamk_f16 v32, v33, 0x3aee, v34
	v_fmac_f16_e32 v34, 0xbaee, v33
	v_add_f16_e32 v33, v18, v21
	v_add_f16_e32 v51, v19, v35
	v_fma_f16 v17, -0.5, v17, v19
	v_sub_f16_e32 v19, v18, v21
	v_add_f16_e32 v18, v37, v18
	v_fmac_f16_e32 v37, -0.5, v33
	v_sub_f16_e32 v33, v35, v36
	v_lshrrev_b32_e32 v40, 16, v20
	v_fmamk_f16 v35, v19, 0xbaee, v17
	v_fmac_f16_e32 v17, 0x3aee, v19
	v_add_f16_e32 v19, v38, v39
	v_add_f16_e32 v18, v18, v21
	v_fmamk_f16 v21, v33, 0x3aee, v37
	v_fmac_f16_e32 v37, 0xbaee, v33
	v_add_f16_e32 v33, v23, v22
	v_add_f16_e32 v51, v51, v36
	;; [unrolled: 1-line block ×3, first 2 shown]
	v_fmac_f16_e32 v20, -0.5, v19
	v_sub_f16_e32 v19, v23, v22
	v_add_f16_e32 v23, v40, v23
	v_fmac_f16_e32 v40, -0.5, v33
	v_sub_f16_e32 v33, v38, v39
	v_lshrrev_b32_e32 v43, 16, v25
	v_fmamk_f16 v38, v19, 0xbaee, v20
	v_fmac_f16_e32 v20, 0x3aee, v19
	v_add_f16_e32 v19, v23, v22
	v_add_f16_e32 v22, v41, v42
	v_fmamk_f16 v23, v33, 0x3aee, v40
	v_fmac_f16_e32 v40, 0xbaee, v33
	v_add_f16_e32 v33, v24, v27
	v_add_f16_e32 v36, v36, v39
	;; [unrolled: 1-line block ×3, first 2 shown]
	v_fma_f16 v22, -0.5, v22, v25
	v_sub_f16_e32 v25, v24, v27
	v_add_f16_e32 v24, v43, v24
	v_fmac_f16_e32 v43, -0.5, v33
	v_sub_f16_e32 v33, v41, v42
	v_lshrrev_b32_e32 v46, 16, v26
	v_fmamk_f16 v41, v25, 0xbaee, v22
	v_fmac_f16_e32 v22, 0x3aee, v25
	v_add_f16_e32 v25, v44, v45
	v_add_f16_e32 v24, v24, v27
	v_fmamk_f16 v27, v33, 0x3aee, v43
	v_fmac_f16_e32 v43, 0xbaee, v33
	v_add_f16_e32 v33, v29, v28
	v_add_f16_e32 v30, v30, v61
	;; [unrolled: 1-line block ×4, first 2 shown]
	v_fmac_f16_e32 v26, -0.5, v25
	v_sub_f16_e32 v25, v29, v28
	v_add_f16_e32 v29, v46, v29
	v_fmac_f16_e32 v46, -0.5, v33
	v_sub_f16_e32 v33, v44, v45
	v_pack_b32_f16 v15, v30, v15
	v_pack_b32_f16 v16, v50, v16
	;; [unrolled: 1-line block ×4, first 2 shown]
	v_add_f16_e32 v42, v42, v45
	v_fmamk_f16 v44, v25, 0xbaee, v26
	v_fmac_f16_e32 v26, 0x3aee, v25
	v_add_f16_e32 v25, v29, v28
	v_pack_b32_f16 v29, v49, v47
	v_pack_b32_f16 v18, v51, v18
	v_fmamk_f16 v28, v33, 0x3aee, v46
	v_pack_b32_f16 v30, v48, v32
	v_pack_b32_f16 v21, v35, v21
	v_fmac_f16_e32 v46, 0xbaee, v33
	ds_write2_b32 v69, v15, v16 offset1:99
	ds_write2_b32 v12, v13, v14 offset0:82 offset1:181
	ds_write2_b32 v55, v18, v29 offset0:70 offset1:169
	;; [unrolled: 1-line block ×3, first 2 shown]
	v_pack_b32_f16 v13, v17, v37
	v_pack_b32_f16 v14, v36, v19
	;; [unrolled: 1-line block ×10, first 2 shown]
	ds_write2_b32 v53, v13, v14 offset0:24 offset1:123
	ds_write2_b32 v54, v15, v18 offset0:36 offset1:135
	;; [unrolled: 1-line block ×5, first 2 shown]
	s_waitcnt lgkmcnt(0)
	s_barrier
	buffer_gl0_inv
	ds_read2_b32 v[13:14], v69 offset1:99
	ds_read2_b32 v[15:16], v53 offset0:24 offset1:123
	ds_read2_b32 v[17:18], v10 offset0:94 offset1:193
	;; [unrolled: 1-line block ×8, first 2 shown]
	s_waitcnt lgkmcnt(8)
	v_lshrrev_b32_e32 v31, 16, v13
	s_waitcnt lgkmcnt(7)
	v_lshrrev_b32_e32 v32, 16, v16
	;; [unrolled: 2-line block ×3, first 2 shown]
	v_lshrrev_b32_e32 v36, 16, v18
	v_mul_f16_sdwa v50, v113, v16 dst_sel:DWORD dst_unused:UNUSED_PAD src0_sel:WORD_1 src1_sel:DWORD
	s_waitcnt lgkmcnt(4)
	v_lshrrev_b32_e32 v38, 16, v21
	v_mul_f16_sdwa v46, v113, v32 dst_sel:DWORD dst_unused:UNUSED_PAD src0_sel:WORD_1 src1_sel:DWORD
	v_mul_f16_sdwa v51, v108, v17 dst_sel:DWORD dst_unused:UNUSED_PAD src0_sel:WORD_1 src1_sel:DWORD
	;; [unrolled: 1-line block ×3, first 2 shown]
	v_fma_f16 v32, v113, v32, -v50
	v_mul_f16_sdwa v50, v107, v18 dst_sel:DWORD dst_unused:UNUSED_PAD src0_sel:WORD_1 src1_sel:DWORD
	v_fmac_f16_e32 v46, v113, v16
	v_mul_f16_sdwa v16, v108, v34 dst_sel:DWORD dst_unused:UNUSED_PAD src0_sel:WORD_1 src1_sel:DWORD
	v_lshrrev_b32_e32 v40, 16, v22
	s_waitcnt lgkmcnt(2)
	v_lshrrev_b32_e32 v42, 16, v25
	v_fmac_f16_e32 v52, v107, v18
	v_mul_f16_sdwa v18, v105, v38 dst_sel:DWORD dst_unused:UNUSED_PAD src0_sel:WORD_1 src1_sel:DWORD
	v_fmac_f16_e32 v16, v108, v17
	v_fma_f16 v17, v108, v34, -v51
	v_fma_f16 v34, v107, v36, -v50
	v_mul_f16_sdwa v36, v105, v21 dst_sel:DWORD dst_unused:UNUSED_PAD src0_sel:WORD_1 src1_sel:DWORD
	v_lshrrev_b32_e32 v44, 16, v26
	s_waitcnt lgkmcnt(0)
	v_lshrrev_b32_e32 v47, 16, v29
	v_mul_f16_sdwa v50, v112, v40 dst_sel:DWORD dst_unused:UNUSED_PAD src0_sel:WORD_1 src1_sel:DWORD
	v_mul_f16_sdwa v51, v112, v22 dst_sel:DWORD dst_unused:UNUSED_PAD src0_sel:WORD_1 src1_sel:DWORD
	v_fmac_f16_e32 v18, v105, v21
	v_mul_f16_sdwa v21, v111, v42 dst_sel:DWORD dst_unused:UNUSED_PAD src0_sel:WORD_1 src1_sel:DWORD
	v_fma_f16 v36, v105, v38, -v36
	v_mul_f16_sdwa v38, v111, v25 dst_sel:DWORD dst_unused:UNUSED_PAD src0_sel:WORD_1 src1_sel:DWORD
	v_lshrrev_b32_e32 v49, 16, v30
	v_fmac_f16_e32 v50, v112, v22
	v_fma_f16 v22, v112, v40, -v51
	v_fmac_f16_e32 v21, v111, v25
	v_mul_f16_sdwa v25, v110, v44 dst_sel:DWORD dst_unused:UNUSED_PAD src0_sel:WORD_1 src1_sel:DWORD
	v_mul_f16_sdwa v40, v110, v26 dst_sel:DWORD dst_unused:UNUSED_PAD src0_sel:WORD_1 src1_sel:DWORD
	;; [unrolled: 1-line block ×3, first 2 shown]
	v_fma_f16 v38, v111, v42, -v38
	v_mul_f16_sdwa v42, v109, v29 dst_sel:DWORD dst_unused:UNUSED_PAD src0_sel:WORD_1 src1_sel:DWORD
	v_lshrrev_b32_e32 v33, 16, v14
	v_lshrrev_b32_e32 v35, 16, v19
	v_fmac_f16_e32 v25, v110, v26
	v_fma_f16 v26, v110, v44, -v40
	v_fmac_f16_e32 v51, v109, v29
	v_mul_f16_sdwa v29, v106, v49 dst_sel:DWORD dst_unused:UNUSED_PAD src0_sel:WORD_1 src1_sel:DWORD
	v_fma_f16 v40, v109, v47, -v42
	v_mul_f16_sdwa v42, v106, v30 dst_sel:DWORD dst_unused:UNUSED_PAD src0_sel:WORD_1 src1_sel:DWORD
	v_lshrrev_b32_e32 v37, 16, v20
	v_lshrrev_b32_e32 v39, 16, v23
	;; [unrolled: 1-line block ×3, first 2 shown]
	v_sub_f16_e32 v44, v13, v46
	v_sub_f16_e32 v32, v31, v32
	;; [unrolled: 1-line block ×4, first 2 shown]
	v_fmac_f16_e32 v29, v106, v30
	v_fma_f16 v30, v106, v49, -v42
	v_sub_f16_e32 v42, v19, v52
	v_sub_f16_e32 v34, v35, v34
	v_lshrrev_b32_e32 v43, 16, v27
	v_lshrrev_b32_e32 v45, 16, v28
	v_sub_f16_e32 v18, v20, v18
	v_sub_f16_e32 v36, v37, v36
	v_lshrrev_b32_e32 v48, 16, v15
	v_fma_f16 v13, v13, 2.0, -v44
	v_fma_f16 v31, v31, 2.0, -v32
	v_fma_f16 v14, v14, 2.0, -v16
	v_fma_f16 v33, v33, 2.0, -v17
	v_sub_f16_e32 v46, v23, v50
	v_sub_f16_e32 v22, v39, v22
	;; [unrolled: 1-line block ×4, first 2 shown]
	v_fma_f16 v19, v19, 2.0, -v42
	v_fma_f16 v35, v35, 2.0, -v34
	;; [unrolled: 1-line block ×4, first 2 shown]
	v_sub_f16_e32 v25, v27, v25
	v_sub_f16_e32 v26, v43, v26
	v_sub_f16_e32 v47, v28, v51
	v_sub_f16_e32 v40, v45, v40
	v_sub_f16_e32 v29, v15, v29
	v_sub_f16_e32 v30, v48, v30
	v_fma_f16 v23, v23, 2.0, -v46
	v_fma_f16 v39, v39, 2.0, -v22
	;; [unrolled: 1-line block ×4, first 2 shown]
	v_pack_b32_f16 v13, v13, v31
	v_pack_b32_f16 v14, v14, v33
	;; [unrolled: 1-line block ×7, first 2 shown]
	v_fma_f16 v27, v27, 2.0, -v25
	v_fma_f16 v43, v43, 2.0, -v26
	;; [unrolled: 1-line block ×4, first 2 shown]
	v_pack_b32_f16 v20, v20, v37
	v_fma_f16 v15, v15, 2.0, -v29
	v_fma_f16 v48, v48, 2.0, -v30
	ds_write2_b32 v69, v13, v14 offset1:99
	ds_write2_b32 v10, v16, v19 offset0:94 offset1:193
	ds_write2_b32 v55, v17, v20 offset0:70 offset1:169
	v_pack_b32_f16 v13, v23, v39
	v_pack_b32_f16 v14, v24, v41
	ds_write2_b32 v54, v18, v22 offset0:36 offset1:135
	v_pack_b32_f16 v16, v21, v38
	v_pack_b32_f16 v18, v25, v26
	;; [unrolled: 1-line block ×8, first 2 shown]
	ds_write2_b32 v11, v13, v14 offset0:140 offset1:239
	ds_write2_b32 v9, v16, v18 offset0:106 offset1:205
	ds_write2_b32 v12, v17, v19 offset0:82 offset1:181
	ds_write2_b32 v53, v15, v31 offset0:24 offset1:123
	ds_write2_b32 v56, v20, v21 offset0:48 offset1:147
	s_waitcnt lgkmcnt(0)
	s_barrier
	buffer_gl0_inv
	ds_read2_b32 v[12:13], v69 offset1:162
	s_waitcnt lgkmcnt(0)
	v_lshrrev_b32_e32 v16, 16, v12
	v_lshrrev_b32_e32 v23, 16, v13
	v_mul_f16_sdwa v14, v81, v16 dst_sel:DWORD dst_unused:UNUSED_PAD src0_sel:WORD_1 src1_sel:DWORD
	v_mul_f16_sdwa v21, v80, v23 dst_sel:DWORD dst_unused:UNUSED_PAD src0_sel:WORD_1 src1_sel:DWORD
	v_fmac_f16_e32 v14, v81, v12
	v_mul_f16_sdwa v12, v81, v12 dst_sel:DWORD dst_unused:UNUSED_PAD src0_sel:WORD_1 src1_sel:DWORD
	v_fmac_f16_e32 v21, v80, v13
	v_cvt_f32_f16_e32 v14, v14
	v_fma_f16 v12, v81, v16, -v12
	v_cvt_f64_f32_e32 v[14:15], v14
	v_cvt_f32_f16_e32 v12, v12
	v_cvt_f64_f32_e32 v[16:17], v12
	v_mul_f64 v[14:15], v[14:15], s[4:5]
	v_mul_f64 v[16:17], v[16:17], s[4:5]
	v_and_or_b32 v12, 0x1ff, v15, v14
	v_lshrrev_b32_e32 v14, 8, v15
	v_bfe_u32 v18, v15, 20, 11
	v_cmp_ne_u32_e64 s0, 0, v12
	v_and_or_b32 v16, 0x1ff, v17, v16
	v_lshrrev_b32_e32 v20, 8, v17
	v_bfe_u32 v24, v17, 20, 11
	v_add_nc_u32_e32 v25, 0xfffffc10, v18
	v_cndmask_b32_e64 v12, 0, 1, s0
	v_cmp_ne_u32_e64 s0, 0, v16
	v_cmp_eq_u32_e64 s2, 0x40f, v25
	v_and_or_b32 v22, 0xffe, v14, v12
	v_sub_nc_u32_e32 v12, 0x3f1, v18
	v_cndmask_b32_e64 v16, 0, 1, s0
	v_or_b32_e32 v14, 0x1000, v22
	v_med3_i32 v12, v12, 0, 13
	v_and_or_b32 v16, 0xffe, v20, v16
	v_sub_nc_u32_e32 v20, 0x3f1, v24
	v_add_nc_u32_e32 v24, 0xfffffc10, v24
	v_lshrrev_b32_e32 v19, v12, v14
	v_or_b32_e32 v26, 0x1000, v16
	v_med3_i32 v27, v20, 0, 13
	v_lshlrev_b32_e32 v12, v12, v19
	v_lshrrev_b32_e32 v28, v27, v26
	v_cmp_ne_u32_e64 s0, v12, v14
	v_cvt_f32_f16_e32 v14, v21
	v_lshlrev_b32_e32 v27, v27, v28
	v_mad_u64_u32 v[20:21], null, s10, v8, 0
	v_cndmask_b32_e64 v12, 0, 1, s0
	v_cmp_gt_i32_e64 s0, 1, v25
	v_or_b32_e32 v12, v19, v12
	v_cvt_f64_f32_e32 v[18:19], v14
	v_lshl_or_b32 v14, v25, 12, v22
	v_cndmask_b32_e64 v14, v14, v12, s0
	v_cmp_ne_u32_e64 s0, v27, v26
	v_mov_b32_e32 v12, v21
	v_lshl_or_b32 v27, v24, 12, v16
	v_and_b32_e32 v29, 7, v14
	v_cndmask_b32_e64 v21, 0, 1, s0
	v_lshrrev_b32_e32 v26, 2, v14
	v_cmp_lt_i32_e64 s0, 5, v29
	v_cmp_eq_u32_e64 s1, 3, v29
	v_or_b32_e32 v21, v28, v21
	v_mul_f16_sdwa v28, v80, v13 dst_sel:DWORD dst_unused:UNUSED_PAD src0_sel:WORD_1 src1_sel:DWORD
	s_or_b32 s0, s1, s0
	v_mul_f64 v[13:14], v[18:19], s[4:5]
	v_add_co_ci_u32_e64 v18, s0, 0, v26, s0
	v_cmp_gt_i32_e64 s0, 1, v24
	v_fma_f16 v19, v80, v23, -v28
	v_cndmask_b32_e64 v23, v27, v21, s0
	v_cmp_ne_u32_e64 s0, 0, v22
	v_cvt_f32_f16_e32 v19, v19
	v_and_b32_e32 v27, 7, v23
	v_cndmask_b32_e64 v21, 0, 1, s0
	v_cmp_gt_i32_e64 s0, 31, v25
	v_cmp_eq_u32_e64 s1, 3, v27
	v_lshl_or_b32 v28, v21, 9, 0x7c00
	v_cndmask_b32_e64 v26, 0x7c00, v18, s0
	v_cvt_f64_f32_e32 v[18:19], v19
	v_cmp_lt_i32_e64 s0, 5, v27
	v_mad_u64_u32 v[21:22], null, s11, v8, v[12:13]
	v_lshrrev_b32_e32 v8, 2, v23
	v_and_or_b32 v12, 0x1ff, v14, v13
	s_or_b32 s0, s1, s0
	v_cndmask_b32_e64 v25, v26, v28, s2
	v_lshrrev_b32_e32 v26, 16, v15
	v_add_co_ci_u32_e64 v8, s0, 0, v8, s0
	v_cmp_ne_u32_e64 s0, 0, v12
	v_lshrrev_b32_e32 v22, 8, v14
	v_bfe_u32 v27, v14, 20, 11
	v_mad_u64_u32 v[12:13], null, s8, v79, 0
	v_cndmask_b32_e64 v15, 0, 1, s0
	v_cmp_ne_u32_e64 s0, 0, v16
	v_lshlrev_b64 v[20:21], 2, v[20:21]
	v_and_or_b32 v28, 0xffe, v22, v15
	v_mul_f64 v[15:16], v[18:19], s[4:5]
	v_cndmask_b32_e64 v23, 0, 1, s0
	v_sub_nc_u32_e32 v22, 0x3f1, v27
	ds_read2_b32 v[18:19], v11 offset0:68 offset1:230
	v_cmp_gt_i32_e64 s0, 31, v24
	v_or_b32_e32 v29, 0x1000, v28
	v_lshl_or_b32 v23, v23, 9, 0x7c00
	v_cndmask_b32_e64 v11, 0x7c00, v8, s0
	v_mov_b32_e32 v8, v13
	v_med3_i32 v13, v22, 0, 13
	v_cmp_eq_u32_e64 s0, 0x40f, v24
	v_cndmask_b32_e64 v11, v11, v23, s0
	v_mad_u64_u32 v[22:23], null, s9, v79, v[8:9]
	v_lshrrev_b32_e32 v8, 16, v17
	v_lshrrev_b32_e32 v17, v13, v29
	v_and_or_b32 v23, 0x8000, v26, v25
	v_and_or_b32 v15, 0x1ff, v16, v15
	s_waitcnt lgkmcnt(0)
	v_lshrrev_b32_e32 v24, 16, v18
	v_and_or_b32 v8, 0x8000, v8, v11
	v_lshlrev_b32_e32 v11, v13, v17
	v_mov_b32_e32 v13, v22
	v_and_b32_e32 v22, 0xffff, v23
	v_add_nc_u32_e32 v25, 0xfffffc10, v27
	v_mul_f16_sdwa v23, v78, v24 dst_sel:DWORD dst_unused:UNUSED_PAD src0_sel:WORD_1 src1_sel:DWORD
	v_cmp_ne_u32_e64 s0, v11, v29
	v_lshrrev_b32_e32 v26, 8, v16
	v_bfe_u32 v27, v16, 20, 11
	v_lshl_or_b32 v8, v8, 16, v22
	v_fmac_f16_e32 v23, v78, v18
	v_cndmask_b32_e64 v11, 0, 1, s0
	v_cmp_ne_u32_e64 s0, 0, v15
	v_mul_f16_sdwa v18, v78, v18 dst_sel:DWORD dst_unused:UNUSED_PAD src0_sel:WORD_1 src1_sel:DWORD
	v_or_b32_e32 v11, v17, v11
	v_cndmask_b32_e64 v15, 0, 1, s0
	v_lshl_or_b32 v17, v25, 12, v28
	v_cmp_gt_i32_e64 s0, 1, v25
	v_fma_f16 v18, v78, v24, -v18
	v_and_or_b32 v15, 0xffe, v26, v15
	v_sub_nc_u32_e32 v26, 0x3f1, v27
	v_cndmask_b32_e64 v17, v17, v11, s0
	v_cvt_f32_f16_e32 v11, v23
	v_add_co_u32 v32, s0, s6, v20
	v_or_b32_e32 v29, 0x1000, v15
	v_med3_i32 v26, v26, 0, 13
	v_cvt_f64_f32_e32 v[22:23], v11
	v_and_b32_e32 v30, 7, v17
	v_lshlrev_b64 v[11:12], 2, v[12:13]
	v_add_co_ci_u32_e64 v33, s0, s7, v21, s0
	v_lshrrev_b32_e32 v31, v26, v29
	v_cmp_lt_i32_e64 s0, 5, v30
	v_cmp_eq_u32_e64 s1, 3, v30
	v_lshrrev_b32_e32 v17, 2, v17
	v_cvt_f32_f16_e32 v20, v18
	v_lshlrev_b32_e32 v13, v26, v31
	v_add_nc_u32_e32 v26, 0xfffffc10, v27
	s_or_b32 s0, s1, s0
	v_add_co_ci_u32_e64 v24, s0, 0, v17, s0
	v_cmp_ne_u32_e64 s2, v13, v29
	v_cmp_ne_u32_e64 s0, 0, v28
	v_cvt_f64_f32_e32 v[20:21], v20
	v_cndmask_b32_e64 v13, 0, 1, s2
	v_mul_f64 v[17:18], v[22:23], s[4:5]
	v_lshl_or_b32 v22, v26, 12, v15
	v_cndmask_b32_e64 v23, 0, 1, s0
	v_cmp_gt_i32_e64 s0, 1, v26
	v_or_b32_e32 v13, v31, v13
	v_cmp_eq_u32_e64 s2, 0x40f, v25
	v_lshl_or_b32 v23, v23, 9, 0x7c00
	v_cndmask_b32_e64 v13, v22, v13, s0
	v_add_co_u32 v11, s0, v32, v11
	v_add_co_ci_u32_e64 v12, s0, v33, v12, s0
	v_and_b32_e32 v22, 7, v13
	v_cmp_gt_i32_e64 s0, 31, v25
	v_lshrrev_b32_e32 v13, 2, v13
	global_store_dword v[11:12], v8, off
	v_cmp_eq_u32_e64 s1, 3, v22
	v_cndmask_b32_e64 v24, 0x7c00, v24, s0
	v_cmp_lt_i32_e64 s0, 5, v22
	v_and_or_b32 v17, 0x1ff, v18, v17
	v_lshrrev_b32_e32 v22, 16, v14
	v_cndmask_b32_e64 v8, v24, v23, s2
	s_or_b32 s0, s1, s0
	v_bfe_u32 v24, v18, 20, 11
	v_add_co_ci_u32_e64 v23, s0, 0, v13, s0
	v_mul_f64 v[13:14], v[20:21], s[4:5]
	v_cmp_ne_u32_e64 s0, 0, v17
	v_lshrrev_b32_e32 v20, 8, v18
	v_lshrrev_b32_e32 v21, 16, v19
	v_sub_nc_u32_e32 v25, 0x3f1, v24
	v_and_or_b32 v8, 0x8000, v22, v8
	v_cndmask_b32_e64 v17, 0, 1, s0
	v_cmp_ne_u32_e64 s0, 0, v15
	v_add_nc_u32_e32 v24, 0xfffffc10, v24
	v_med3_i32 v25, v25, 0, 13
	v_and_b32_e32 v8, 0xffff, v8
	v_and_or_b32 v17, 0xffe, v20, v17
	v_cndmask_b32_e64 v15, 0, 1, s0
	v_mul_f16_sdwa v20, v77, v21 dst_sel:DWORD dst_unused:UNUSED_PAD src0_sel:WORD_1 src1_sel:DWORD
	v_cmp_gt_i32_e64 s0, 31, v26
	s_mul_i32 s1, s9, 0xa2
	v_or_b32_e32 v27, 0x1000, v17
	v_lshl_or_b32 v15, v15, 9, 0x7c00
	v_fmac_f16_e32 v20, v77, v19
	v_cndmask_b32_e64 v23, 0x7c00, v23, s0
	v_cmp_eq_u32_e64 s0, 0x40f, v26
	v_lshrrev_b32_e32 v22, v25, v27
	v_and_or_b32 v13, 0x1ff, v14, v13
	v_bfe_u32 v26, v14, 20, 11
	v_mul_f16_sdwa v19, v77, v19 dst_sel:DWORD dst_unused:UNUSED_PAD src0_sel:WORD_1 src1_sel:DWORD
	v_cndmask_b32_e64 v23, v23, v15, s0
	v_cvt_f32_f16_e32 v15, v20
	v_lshrrev_b32_e32 v20, 16, v16
	v_cmp_ne_u32_e64 s0, 0, v13
	s_mul_hi_u32 s2, s8, 0xa2
	v_fma_f16 v19, v77, v21, -v19
	v_cvt_f64_f32_e32 v[15:16], v15
	v_and_or_b32 v20, 0x8000, v20, v23
	v_lshlrev_b32_e32 v23, v25, v22
	v_cndmask_b32_e64 v13, 0, 1, s0
	v_lshrrev_b32_e32 v25, 8, v14
	s_add_i32 s1, s2, s1
	v_lshl_or_b32 v8, v20, 16, v8
	v_cmp_ne_u32_e64 s0, v23, v27
	v_cvt_f32_f16_e32 v19, v19
	v_and_or_b32 v13, 0xffe, v25, v13
	v_sub_nc_u32_e32 v25, 0x3f1, v26
	v_lshrrev_b32_e32 v18, 16, v18
	v_cndmask_b32_e64 v23, 0, 1, s0
	v_cmp_gt_i32_e64 s0, 1, v24
	v_or_b32_e32 v27, 0x1000, v13
	v_med3_i32 v25, v25, 0, 13
	v_lshrrev_b32_e32 v14, 16, v14
	v_or_b32_e32 v22, v22, v23
	v_lshl_or_b32 v23, v24, 12, v17
	v_mul_f64 v[15:16], v[15:16], s[4:5]
	v_cndmask_b32_e64 v22, v23, v22, s0
	v_lshrrev_b32_e32 v23, v25, v27
	s_mul_i32 s0, s8, 0xa2
	s_lshl_b64 s[6:7], s[0:1], 2
	v_and_b32_e32 v28, 7, v22
	v_lshlrev_b32_e32 v20, v25, v23
	v_lshrrev_b32_e32 v21, 2, v22
	v_add_nc_u32_e32 v25, 0xfffffc10, v26
	v_cmp_lt_i32_e64 s0, 5, v28
	v_cmp_eq_u32_e64 s1, 3, v28
	v_cmp_ne_u32_e64 s2, v20, v27
	v_cvt_f64_f32_e32 v[19:20], v19
	s_or_b32 s0, s1, s0
	v_cndmask_b32_e64 v22, 0, 1, s2
	v_add_co_ci_u32_e64 v26, s0, 0, v21, s0
	v_cmp_ne_u32_e64 s0, 0, v17
	v_and_or_b32 v15, 0x1ff, v16, v15
	v_or_b32_e32 v21, v23, v22
	v_lshl_or_b32 v22, v25, 12, v13
	v_add_nc_u32_e32 v23, 0xa00, v69
	v_cndmask_b32_e64 v17, 0, 1, s0
	v_cmp_gt_i32_e64 s0, 1, v25
	v_bfe_u32 v28, v16, 20, 11
	v_lshl_or_b32 v17, v17, 9, 0x7c00
	v_cndmask_b32_e64 v27, v22, v21, s0
	v_cmp_ne_u32_e64 s0, 0, v15
	ds_read2_b32 v[21:22], v23 offset0:8 offset1:170
	v_lshrrev_b32_e32 v23, 8, v16
	v_mul_f64 v[19:20], v[19:20], s[4:5]
	v_and_b32_e32 v29, 7, v27
	v_cndmask_b32_e64 v15, 0, 1, s0
	v_cmp_gt_i32_e64 s0, 31, v24
	v_cmp_eq_u32_e64 s1, 3, v29
	v_and_or_b32 v15, 0xffe, v23, v15
	v_cndmask_b32_e64 v26, 0x7c00, v26, s0
	v_cmp_eq_u32_e64 s0, 0x40f, v24
	v_sub_nc_u32_e32 v23, 0x3f1, v28
	v_or_b32_e32 v24, 0x1000, v15
	v_cndmask_b32_e64 v17, v26, v17, s0
	v_cmp_lt_i32_e64 s0, 5, v29
	v_med3_i32 v23, v23, 0, 13
	v_and_or_b32 v26, 0x8000, v18, v17
	v_lshrrev_b32_e32 v17, 2, v27
	s_or_b32 s0, s1, s0
	s_waitcnt lgkmcnt(0)
	v_lshrrev_b32_e32 v27, 16, v21
	v_lshrrev_b32_e32 v29, v23, v24
	v_bfe_u32 v31, v20, 20, 11
	v_add_co_ci_u32_e64 v17, s0, 0, v17, s0
	v_cmp_ne_u32_e64 s0, 0, v13
	v_mul_f16_sdwa v18, v76, v27 dst_sel:DWORD dst_unused:UNUSED_PAD src0_sel:WORD_1 src1_sel:DWORD
	v_lshlrev_b32_e32 v23, v23, v29
	v_and_b32_e32 v26, 0xffff, v26
	v_cndmask_b32_e64 v13, 0, 1, s0
	v_cmp_gt_i32_e64 s0, 31, v25
	v_fmac_f16_e32 v18, v76, v21
	v_mul_f16_sdwa v21, v76, v21 dst_sel:DWORD dst_unused:UNUSED_PAD src0_sel:WORD_1 src1_sel:DWORD
	v_lshl_or_b32 v13, v13, 9, 0x7c00
	v_cndmask_b32_e64 v30, 0x7c00, v17, s0
	v_and_or_b32 v17, 0x1ff, v20, v19
	v_cmp_ne_u32_e64 s0, v23, v24
	v_cvt_f32_f16_e32 v18, v18
	v_add_nc_u32_e32 v23, 0xfffffc10, v28
	v_lshrrev_b32_e32 v28, 8, v20
	v_lshrrev_b32_e32 v20, 16, v20
	v_cndmask_b32_e64 v19, 0, 1, s0
	v_cmp_ne_u32_e64 s0, 0, v17
	v_cvt_f64_f32_e32 v[17:18], v18
	v_or_b32_e32 v19, v29, v19
	v_cndmask_b32_e64 v24, 0, 1, s0
	v_cmp_eq_u32_e64 s0, 0x40f, v25
	v_lshl_or_b32 v25, v23, 12, v15
	v_and_or_b32 v24, 0xffe, v28, v24
	v_cndmask_b32_e64 v13, v30, v13, s0
	v_sub_nc_u32_e32 v28, 0x3f1, v31
	v_cmp_gt_i32_e64 s0, 1, v23
	v_and_or_b32 v29, 0x8000, v14, v13
	v_med3_i32 v28, v28, 0, 13
	v_cndmask_b32_e64 v19, v25, v19, s0
	v_or_b32_e32 v25, 0x1000, v24
	v_add_co_u32 v11, s0, v11, s6
	v_add_co_ci_u32_e64 v12, s0, s7, v12, s0
	v_lshrrev_b32_e32 v30, v28, v25
	v_mul_f64 v[13:14], v[17:18], s[4:5]
	v_and_b32_e32 v32, 7, v19
	v_fma_f16 v18, v76, v27, -v21
	v_lshrrev_b32_e32 v19, 2, v19
	v_lshlrev_b32_e32 v17, v28, v30
	v_add_nc_u32_e32 v21, 0xfffffc10, v31
	v_cmp_lt_i32_e64 s0, 5, v32
	v_cvt_f32_f16_e32 v18, v18
	global_store_dword v[11:12], v8, off
	v_cmp_ne_u32_e64 s1, v17, v25
	v_lshl_or_b32 v8, v29, 16, v26
	v_lshl_or_b32 v26, v21, 12, v24
	v_cndmask_b32_e64 v17, 0, 1, s1
	v_cmp_eq_u32_e64 s1, 3, v32
	v_or_b32_e32 v25, v30, v17
	s_or_b32 s0, s1, s0
	v_cvt_f64_f32_e32 v[17:18], v18
	v_add_co_ci_u32_e64 v19, s0, 0, v19, s0
	v_cmp_ne_u32_e64 s0, 0, v15
	v_and_or_b32 v13, 0x1ff, v14, v13
	v_lshrrev_b32_e32 v27, 8, v14
	v_bfe_u32 v28, v14, 20, 11
	v_cndmask_b32_e64 v15, 0, 1, s0
	v_cmp_gt_i32_e64 s0, 1, v21
	v_lshl_or_b32 v15, v15, 9, 0x7c00
	v_cndmask_b32_e64 v25, v26, v25, s0
	v_cmp_gt_i32_e64 s0, 31, v23
	v_and_b32_e32 v26, 7, v25
	v_cndmask_b32_e64 v19, 0x7c00, v19, s0
	v_cmp_ne_u32_e64 s0, 0, v13
	v_cmp_eq_u32_e64 s1, 3, v26
	v_cndmask_b32_e64 v13, 0, 1, s0
	v_cmp_eq_u32_e64 s0, 0x40f, v23
	v_lshrrev_b32_e32 v23, 16, v16
	v_and_or_b32 v13, 0xffe, v27, v13
	v_cndmask_b32_e64 v19, v19, v15, s0
	v_cmp_lt_i32_e64 s0, 5, v26
	v_mul_f64 v[15:16], v[17:18], s[4:5]
	v_lshrrev_b32_e32 v17, 2, v25
	v_sub_nc_u32_e32 v27, 0x3f1, v28
	v_or_b32_e32 v18, 0x1000, v13
	s_or_b32 s0, s1, s0
	v_lshrrev_b32_e32 v26, 16, v22
	v_add_co_ci_u32_e64 v17, s0, 0, v17, s0
	v_med3_i32 v25, v27, 0, 13
	v_cmp_ne_u32_e64 s0, 0, v24
	v_mul_f16_sdwa v29, v75, v26 dst_sel:DWORD dst_unused:UNUSED_PAD src0_sel:WORD_1 src1_sel:DWORD
	v_and_or_b32 v19, 0x8000, v23, v19
	v_lshrrev_b32_e32 v27, v25, v18
	v_cndmask_b32_e64 v24, 0, 1, s0
	v_cmp_gt_i32_e64 s0, 31, v21
	v_fmac_f16_e32 v29, v75, v22
	v_and_b32_e32 v19, 0xffff, v19
	v_lshlrev_b32_e32 v23, v25, v27
	v_lshl_or_b32 v24, v24, 9, 0x7c00
	v_cndmask_b32_e64 v17, 0x7c00, v17, s0
	v_cmp_eq_u32_e64 s0, 0x40f, v21
	v_and_or_b32 v15, 0x1ff, v16, v15
	v_add_nc_u32_e32 v25, 0xfffffc10, v28
	v_bfe_u32 v28, v16, 20, 11
	v_mul_f16_sdwa v22, v75, v22 dst_sel:DWORD dst_unused:UNUSED_PAD src0_sel:WORD_1 src1_sel:DWORD
	v_cndmask_b32_e64 v21, v17, v24, s0
	v_cmp_ne_u32_e64 s0, v23, v18
	v_cvt_f32_f16_e32 v17, v29
	v_lshrrev_b32_e32 v24, 8, v16
	v_fma_f16 v22, v75, v26, -v22
	v_and_or_b32 v20, 0x8000, v20, v21
	v_cndmask_b32_e64 v23, 0, 1, s0
	v_cmp_ne_u32_e64 s0, 0, v15
	v_cvt_f64_f32_e32 v[17:18], v17
	v_add_nc_u32_e32 v26, 0xfffffc10, v28
	v_cvt_f32_f16_e32 v22, v22
	v_or_b32_e32 v21, v27, v23
	v_cndmask_b32_e64 v15, 0, 1, s0
	v_lshl_or_b32 v23, v25, 12, v13
	v_cmp_gt_i32_e64 s0, 1, v25
	v_lshl_or_b32 v27, v20, 16, v19
	v_and_or_b32 v15, 0xffe, v24, v15
	v_sub_nc_u32_e32 v24, 0x3f1, v28
	v_cndmask_b32_e64 v21, v23, v21, s0
	v_add_co_u32 v11, s0, v11, s6
	v_or_b32_e32 v23, 0x1000, v15
	v_med3_i32 v24, v24, 0, 13
	v_add_co_ci_u32_e64 v12, s0, s7, v12, s0
	v_and_b32_e32 v29, 7, v21
	v_add_co_u32 v19, s0, v11, s6
	v_lshrrev_b32_e32 v30, v24, v23
	v_mul_f64 v[17:18], v[17:18], s[4:5]
	v_add_co_ci_u32_e64 v20, s0, s7, v12, s0
	v_cmp_lt_i32_e64 s0, 5, v29
	v_lshlrev_b32_e32 v24, v24, v30
	v_cmp_eq_u32_e64 s1, 3, v29
	v_lshrrev_b32_e32 v21, 2, v21
	v_cmp_ne_u32_e64 s2, v24, v23
	s_or_b32 s0, s1, s0
	v_add_co_ci_u32_e64 v28, s0, 0, v21, s0
	v_cndmask_b32_e64 v23, 0, 1, s2
	v_cmp_ne_u32_e64 s0, 0, v13
	v_cvt_f64_f32_e32 v[21:22], v22
	v_or_b32_e32 v29, v30, v23
	v_lshl_or_b32 v30, v26, 12, v15
	ds_read2_b32 v[23:24], v10 offset0:76 offset1:238
	v_cndmask_b32_e64 v10, 0, 1, s0
	v_cmp_gt_i32_e64 s0, 1, v26
	v_and_or_b32 v13, 0x1ff, v18, v17
	v_bfe_u32 v31, v18, 20, 11
	global_store_dword v[11:12], v8, off
	global_store_dword v[19:20], v27, off
	v_lshl_or_b32 v10, v10, 9, 0x7c00
	v_cndmask_b32_e64 v29, v30, v29, s0
	v_cmp_gt_i32_e64 s0, 31, v25
	v_lshrrev_b32_e32 v30, 8, v18
	v_cndmask_b32_e64 v17, 0x7c00, v28, s0
	v_cmp_ne_u32_e64 s0, 0, v13
	v_and_b32_e32 v28, 7, v29
	v_cndmask_b32_e64 v13, 0, 1, s0
	v_cmp_eq_u32_e64 s0, 0x40f, v25
	v_cmp_eq_u32_e64 s1, 3, v28
	v_and_or_b32 v25, 0xffe, v30, v13
	v_cndmask_b32_e64 v10, v17, v10, s0
	v_cmp_lt_i32_e64 s0, 5, v28
	v_lshrrev_b32_e32 v17, 16, v14
	v_mul_f64 v[13:14], v[21:22], s[4:5]
	v_lshrrev_b32_e32 v22, 2, v29
	v_sub_nc_u32_e32 v30, 0x3f1, v31
	s_or_b32 s0, s1, s0
	v_or_b32_e32 v28, 0x1000, v25
	s_waitcnt lgkmcnt(0)
	v_lshrrev_b32_e32 v21, 16, v23
	v_add_co_ci_u32_e64 v22, s0, 0, v22, s0
	v_med3_i32 v29, v30, 0, 13
	v_cmp_ne_u32_e64 s0, 0, v15
	v_mul_f16_sdwa v30, v74, v21 dst_sel:DWORD dst_unused:UNUSED_PAD src0_sel:WORD_1 src1_sel:DWORD
	v_and_or_b32 v10, 0x8000, v17, v10
	v_lshrrev_b32_e32 v32, v29, v28
	v_cndmask_b32_e64 v15, 0, 1, s0
	v_cmp_gt_i32_e64 s0, 31, v26
	v_fmac_f16_e32 v30, v74, v23
	v_and_b32_e32 v10, 0xffff, v10
	v_lshlrev_b32_e32 v17, v29, v32
	v_lshl_or_b32 v15, v15, 9, 0x7c00
	v_cndmask_b32_e64 v22, 0x7c00, v22, s0
	v_cmp_eq_u32_e64 s0, 0x40f, v26
	v_and_or_b32 v13, 0x1ff, v14, v13
	v_cvt_f32_f16_e32 v29, v30
	v_lshrrev_b32_e32 v26, 16, v16
	v_bfe_u32 v30, v14, 20, 11
	v_cndmask_b32_e64 v22, v22, v15, s0
	v_cmp_ne_u32_e64 s0, v17, v28
	v_cvt_f64_f32_e32 v[15:16], v29
	v_add_nc_u32_e32 v28, 0xfffffc10, v31
	v_lshrrev_b32_e32 v29, 8, v14
	v_and_or_b32 v22, 0x8000, v26, v22
	v_cndmask_b32_e64 v17, 0, 1, s0
	v_cmp_ne_u32_e64 s0, 0, v13
	v_lshl_or_b32 v26, v28, 12, v25
	v_lshrrev_b32_e32 v14, 16, v14
	v_lshl_or_b32 v8, v22, 16, v10
	v_or_b32_e32 v17, v32, v17
	v_cndmask_b32_e64 v13, 0, 1, s0
	v_cmp_gt_i32_e64 s0, 1, v28
	v_and_or_b32 v29, 0xffe, v29, v13
	v_sub_nc_u32_e32 v13, 0x3f1, v30
	v_cndmask_b32_e64 v17, v26, v17, s0
	v_add_co_u32 v12, s0, v19, s6
	v_or_b32_e32 v26, 0x1000, v29
	v_med3_i32 v31, v13, 0, 13
	v_and_b32_e32 v22, 7, v17
	v_mul_f64 v[10:11], v[15:16], s[4:5]
	v_mul_f16_sdwa v16, v74, v23 dst_sel:DWORD dst_unused:UNUSED_PAD src0_sel:WORD_1 src1_sel:DWORD
	v_add_co_ci_u32_e64 v13, s0, s7, v20, s0
	v_lshrrev_b32_e32 v27, v31, v26
	v_cmp_lt_i32_e64 s0, 5, v22
	v_cmp_eq_u32_e64 s1, 3, v22
	v_lshrrev_b32_e32 v17, 2, v17
	v_fma_f16 v16, v74, v21, -v16
	v_lshlrev_b32_e32 v15, v31, v27
	v_add_nc_u32_e32 v19, 0xfffffc10, v30
	s_or_b32 s0, s1, s0
	global_store_dword v[12:13], v8, off
	v_add_co_ci_u32_e64 v17, s0, 0, v17, s0
	v_cmp_ne_u32_e64 s2, v15, v26
	v_cvt_f32_f16_e32 v16, v16
	v_cmp_ne_u32_e64 s0, 0, v25
	v_lshl_or_b32 v21, v19, 12, v29
	v_cndmask_b32_e64 v15, 0, 1, s2
	v_cndmask_b32_e64 v22, 0, 1, s0
	v_cmp_gt_i32_e64 s0, 1, v19
	v_and_or_b32 v10, 0x1ff, v11, v10
	v_or_b32_e32 v20, v27, v15
	v_cvt_f64_f32_e32 v[15:16], v16
	v_lshrrev_b32_e32 v23, 8, v11
	v_bfe_u32 v25, v11, 20, 11
	v_cndmask_b32_e64 v20, v21, v20, s0
	v_cmp_gt_i32_e64 s0, 31, v28
	v_lshl_or_b32 v21, v22, 9, 0x7c00
	v_and_b32_e32 v22, 7, v20
	v_cndmask_b32_e64 v17, 0x7c00, v17, s0
	v_cmp_ne_u32_e64 s0, 0, v10
	v_lshrrev_b32_e32 v20, 2, v20
	v_cmp_eq_u32_e64 s1, 3, v22
	v_cndmask_b32_e64 v10, 0, 1, s0
	v_cmp_eq_u32_e64 s0, 0x40f, v28
	v_and_or_b32 v10, 0xffe, v23, v10
	v_cndmask_b32_e64 v21, v17, v21, s0
	v_cmp_lt_i32_e64 s0, 5, v22
	v_lshrrev_b32_e32 v22, 16, v24
	v_mul_f64 v[15:16], v[15:16], s[4:5]
	v_sub_nc_u32_e32 v17, 0x3f1, v25
	v_or_b32_e32 v23, 0x1000, v10
	s_or_b32 s0, s1, s0
	v_mul_f16_sdwa v26, v73, v22 dst_sel:DWORD dst_unused:UNUSED_PAD src0_sel:WORD_1 src1_sel:DWORD
	v_add_co_ci_u32_e64 v20, s0, 0, v20, s0
	v_med3_i32 v17, v17, 0, 13
	v_cmp_ne_u32_e64 s0, 0, v29
	v_fmac_f16_e32 v26, v73, v24
	v_lshrrev_b32_e32 v29, 16, v18
	v_lshrrev_b32_e32 v28, v17, v23
	v_cndmask_b32_e64 v27, 0, 1, s0
	v_cmp_gt_i32_e64 s0, 31, v19
	v_cvt_f32_f16_e32 v18, v26
	v_and_or_b32 v21, 0x8000, v29, v21
	v_lshlrev_b32_e32 v26, v17, v28
	v_lshl_or_b32 v27, v27, 9, 0x7c00
	v_cndmask_b32_e64 v20, 0x7c00, v20, s0
	v_cmp_eq_u32_e64 s0, 0x40f, v19
	v_cvt_f64_f32_e32 v[17:18], v18
	v_and_or_b32 v15, 0x1ff, v16, v15
	v_and_b32_e32 v21, 0xffff, v21
	v_cndmask_b32_e64 v19, v20, v27, s0
	v_cmp_ne_u32_e64 s0, v26, v23
	v_add_nc_u32_e32 v23, 0xfffffc10, v25
	v_lshrrev_b32_e32 v25, 8, v16
	v_bfe_u32 v26, v16, 20, 11
	v_and_or_b32 v14, 0x8000, v14, v19
	v_cndmask_b32_e64 v20, 0, 1, s0
	v_cmp_ne_u32_e64 s0, 0, v15
	v_lshrrev_b32_e32 v16, 16, v16
	v_sub_nc_u32_e32 v8, 0x3f1, v26
	v_lshl_or_b32 v21, v14, 16, v21
	v_or_b32_e32 v19, v28, v20
	v_lshl_or_b32 v20, v23, 12, v10
	v_cndmask_b32_e64 v15, 0, 1, s0
	v_cmp_gt_i32_e64 s0, 1, v23
	v_med3_i32 v8, v8, 0, 13
	v_cndmask_b32_e64 v19, v20, v19, s0
	v_and_or_b32 v20, 0xffe, v25, v15
	v_mul_f64 v[14:15], v[17:18], s[4:5]
	v_add_co_u32 v12, s0, v12, s6
	v_and_b32_e32 v25, 7, v19
	v_or_b32_e32 v27, 0x1000, v20
	v_add_co_ci_u32_e64 v13, s0, s7, v13, s0
	v_lshrrev_b32_e32 v18, 2, v19
	v_cmp_lt_i32_e64 s0, 5, v25
	v_lshrrev_b32_e32 v28, v8, v27
	v_cmp_eq_u32_e64 s1, 3, v25
	v_mul_f16_sdwa v17, v73, v24 dst_sel:DWORD dst_unused:UNUSED_PAD src0_sel:WORD_1 src1_sel:DWORD
	global_store_dword v[12:13], v21, off
	v_add_nc_u32_e32 v21, 0xfffffc10, v26
	v_lshlrev_b32_e32 v19, v8, v28
	s_or_b32 s0, s1, s0
	v_fma_f16 v17, v73, v22, -v17
	v_add_co_ci_u32_e64 v18, s0, 0, v18, s0
	v_cmp_ne_u32_e64 s0, v19, v27
	ds_read2_b32 v[8:9], v9 offset0:16 offset1:178
	v_cvt_f32_f16_e32 v17, v17
	v_and_or_b32 v14, 0x1ff, v15, v14
	v_lshl_or_b32 v24, v21, 12, v20
	v_cndmask_b32_e64 v19, 0, 1, s0
	v_cmp_gt_i32_e64 s0, 31, v23
	v_lshrrev_b32_e32 v25, 8, v15
	v_bfe_u32 v26, v15, 20, 11
	v_or_b32_e32 v19, v28, v19
	v_cndmask_b32_e64 v22, 0x7c00, v18, s0
	v_cmp_ne_u32_e64 s0, 0, v14
	v_cvt_f64_f32_e32 v[17:18], v17
	v_cndmask_b32_e64 v14, 0, 1, s0
	v_cmp_ne_u32_e64 s0, 0, v10
	v_and_or_b32 v14, 0xffe, v25, v14
	v_cndmask_b32_e64 v10, 0, 1, s0
	v_cmp_gt_i32_e64 s0, 1, v21
	s_waitcnt lgkmcnt(0)
	v_lshrrev_b32_e32 v25, 16, v8
	v_or_b32_e32 v28, 0x1000, v14
	v_lshl_or_b32 v10, v10, 9, 0x7c00
	v_cndmask_b32_e64 v19, v24, v19, s0
	v_sub_nc_u32_e32 v24, 0x3f1, v26
	v_cmp_eq_u32_e64 s0, 0x40f, v23
	v_mul_f16_sdwa v29, v72, v25 dst_sel:DWORD dst_unused:UNUSED_PAD src0_sel:WORD_1 src1_sel:DWORD
	v_add_nc_u32_e32 v26, 0xfffffc10, v26
	v_and_b32_e32 v27, 7, v19
	v_med3_i32 v24, v24, 0, 13
	v_cndmask_b32_e64 v22, v22, v10, s0
	v_lshrrev_b32_e32 v10, 2, v19
	v_mul_f64 v[17:18], v[17:18], s[4:5]
	v_cmp_lt_i32_e64 s0, 5, v27
	v_cmp_eq_u32_e64 s1, 3, v27
	v_lshrrev_b32_e32 v23, v24, v28
	v_fmac_f16_e32 v29, v72, v8
	v_lshrrev_b32_e32 v27, 16, v11
	v_mul_f16_sdwa v8, v72, v8 dst_sel:DWORD dst_unused:UNUSED_PAD src0_sel:WORD_1 src1_sel:DWORD
	s_or_b32 s0, s1, s0
	v_lshlrev_b32_e32 v19, v24, v23
	v_add_co_ci_u32_e64 v24, s0, 0, v10, s0
	v_cmp_ne_u32_e64 s0, 0, v20
	v_cvt_f32_f16_e32 v11, v29
	v_and_or_b32 v22, 0x8000, v27, v22
	v_fma_f16 v8, v72, v25, -v8
	v_lshrrev_b32_e32 v29, 16, v9
	v_cndmask_b32_e64 v20, 0, 1, s0
	v_cmp_ne_u32_e64 s0, v19, v28
	v_cvt_f64_f32_e32 v[10:11], v11
	v_and_b32_e32 v22, 0xffff, v22
	v_cvt_f32_f16_e32 v8, v8
	v_lshl_or_b32 v20, v20, 9, 0x7c00
	v_cndmask_b32_e64 v19, 0, 1, s0
	v_cmp_gt_i32_e64 s0, 31, v21
	v_and_or_b32 v17, 0x1ff, v18, v17
	v_or_b32_e32 v19, v23, v19
	v_cndmask_b32_e64 v24, 0x7c00, v24, s0
	v_cmp_eq_u32_e64 s0, 0x40f, v21
	v_lshl_or_b32 v23, v26, 12, v14
	v_lshrrev_b32_e32 v21, 8, v18
	v_cndmask_b32_e64 v20, v24, v20, s0
	v_cmp_gt_i32_e64 s0, 1, v26
	v_and_or_b32 v16, 0x8000, v16, v20
	v_cndmask_b32_e64 v19, v23, v19, s0
	v_cmp_ne_u32_e64 s0, 0, v17
	v_bfe_u32 v23, v18, 20, 11
	v_mul_f64 v[10:11], v[10:11], s[4:5]
	v_lshl_or_b32 v22, v16, 16, v22
	v_and_b32_e32 v24, 7, v19
	v_cndmask_b32_e64 v17, 0, 1, s0
	v_lshrrev_b32_e32 v19, 2, v19
	v_lshrrev_b32_e32 v18, 16, v18
	v_cmp_lt_i32_e64 s0, 5, v24
	v_and_or_b32 v21, 0xffe, v21, v17
	v_sub_nc_u32_e32 v17, 0x3f1, v23
	v_cmp_eq_u32_e64 s1, 3, v24
	v_or_b32_e32 v20, 0x1000, v21
	v_med3_i32 v17, v17, 0, 13
	s_or_b32 s0, s1, s0
	v_add_co_ci_u32_e64 v19, s0, 0, v19, s0
	v_lshrrev_b32_e32 v24, v17, v20
	v_cmp_gt_i32_e64 s0, 31, v26
	v_and_or_b32 v10, 0x1ff, v11, v10
	v_bfe_u32 v25, v11, 20, 11
	v_lshlrev_b32_e32 v16, v17, v24
	v_cndmask_b32_e64 v19, 0x7c00, v19, s0
	v_cmp_ne_u32_e64 s0, v16, v20
	v_cvt_f64_f32_e32 v[16:17], v8
	v_add_nc_u32_e32 v8, 0xfffffc10, v23
	v_lshrrev_b32_e32 v23, 8, v11
	v_cndmask_b32_e64 v20, 0, 1, s0
	v_cmp_ne_u32_e64 s0, 0, v10
	v_or_b32_e32 v20, v24, v20
	v_cndmask_b32_e64 v10, 0, 1, s0
	v_cmp_ne_u32_e64 s0, 0, v14
	v_lshl_or_b32 v24, v8, 12, v21
	v_and_or_b32 v10, 0xffe, v23, v10
	v_cndmask_b32_e64 v14, 0, 1, s0
	v_cmp_gt_i32_e64 s0, 1, v8
	v_sub_nc_u32_e32 v23, 0x3f1, v25
	v_lshl_or_b32 v14, v14, 9, 0x7c00
	v_cndmask_b32_e64 v20, v24, v20, s0
	v_cmp_eq_u32_e64 s0, 0x40f, v26
	v_or_b32_e32 v24, 0x1000, v10
	v_med3_i32 v23, v23, 0, 13
	v_lshrrev_b32_e32 v26, 16, v15
	v_and_b32_e32 v27, 7, v20
	v_cndmask_b32_e64 v19, v19, v14, s0
	v_mul_f64 v[14:15], v[16:17], s[4:5]
	v_lshrrev_b32_e32 v28, v23, v24
	v_add_co_u32 v12, s0, v12, s6
	v_add_co_ci_u32_e64 v13, s0, s7, v13, s0
	v_lshlrev_b32_e32 v17, v23, v28
	v_mul_f16_sdwa v16, v71, v29 dst_sel:DWORD dst_unused:UNUSED_PAD src0_sel:WORD_1 src1_sel:DWORD
	v_cmp_lt_i32_e64 s0, 5, v27
	v_cmp_eq_u32_e64 s1, 3, v27
	v_lshrrev_b32_e32 v20, 2, v20
	v_cmp_ne_u32_e64 s2, v17, v24
	v_fmac_f16_e32 v16, v71, v9
	v_add_nc_u32_e32 v23, 0xfffffc10, v25
	s_or_b32 s0, s1, s0
	v_and_or_b32 v19, 0x8000, v26, v19
	v_add_co_ci_u32_e64 v20, s0, 0, v20, s0
	v_cndmask_b32_e64 v17, 0, 1, s2
	v_cmp_ne_u32_e64 s0, 0, v21
	v_cvt_f32_f16_e32 v16, v16
	v_lshl_or_b32 v25, v23, 12, v10
	v_and_or_b32 v14, 0x1ff, v15, v14
	v_or_b32_e32 v24, v28, v17
	v_cndmask_b32_e64 v21, 0, 1, s0
	v_cmp_gt_i32_e64 s0, 1, v23
	v_cvt_f64_f32_e32 v[16:17], v16
	v_bfe_u32 v26, v15, 20, 11
	v_and_b32_e32 v19, 0xffff, v19
	v_lshl_or_b32 v21, v21, 9, 0x7c00
	v_cndmask_b32_e64 v24, v25, v24, s0
	v_cmp_ne_u32_e64 s0, 0, v14
	v_lshrrev_b32_e32 v25, 8, v15
	v_mul_f16_sdwa v9, v71, v9 dst_sel:DWORD dst_unused:UNUSED_PAD src0_sel:WORD_1 src1_sel:DWORD
	v_and_b32_e32 v27, 7, v24
	v_cndmask_b32_e64 v14, 0, 1, s0
	v_cmp_gt_i32_e64 s0, 31, v8
	v_fma_f16 v9, v71, v29, -v9
	v_cmp_eq_u32_e64 s1, 3, v27
	v_and_or_b32 v14, 0xffe, v25, v14
	v_cndmask_b32_e64 v20, 0x7c00, v20, s0
	v_cmp_eq_u32_e64 s0, 0x40f, v8
	v_cndmask_b32_e64 v8, v20, v21, s0
	v_sub_nc_u32_e32 v20, 0x3f1, v26
	v_cmp_lt_i32_e64 s0, 5, v27
	v_mul_f64 v[16:17], v[16:17], s[4:5]
	v_or_b32_e32 v21, 0x1000, v14
	v_and_or_b32 v8, 0x8000, v18, v8
	v_lshrrev_b32_e32 v18, 2, v24
	v_med3_i32 v20, v20, 0, 13
	s_or_b32 s0, s1, s0
	v_lshl_or_b32 v25, v8, 16, v19
	v_add_co_ci_u32_e64 v18, s0, 0, v18, s0
	v_lshrrev_b32_e32 v24, v20, v21
	v_cmp_ne_u32_e64 s0, 0, v10
	v_lshlrev_b32_e32 v8, v20, v24
	v_cndmask_b32_e64 v10, 0, 1, s0
	v_cmp_gt_i32_e64 s0, 31, v23
	ds_read_b32 v20, v69 offset:6480
	v_lshl_or_b32 v10, v10, 9, 0x7c00
	v_cndmask_b32_e64 v18, 0x7c00, v18, s0
	v_cmp_ne_u32_e64 s0, v8, v21
	v_and_or_b32 v16, 0x1ff, v17, v16
	v_add_nc_u32_e32 v21, 0xfffffc10, v26
	v_lshrrev_b32_e32 v26, 16, v11
	v_cndmask_b32_e64 v8, 0, 1, s0
	v_cmp_eq_u32_e64 s0, 0x40f, v23
	v_lshl_or_b32 v19, v21, 12, v14
	v_lshrrev_b32_e32 v23, 8, v17
	v_cndmask_b32_e64 v18, v18, v10, s0
	v_cmp_ne_u32_e64 s0, 0, v16
	v_or_b32_e32 v10, v24, v8
	v_cvt_f32_f16_e32 v8, v9
	v_bfe_u32 v24, v17, 20, 11
	v_and_or_b32 v26, 0x8000, v26, v18
	v_cndmask_b32_e64 v16, 0, 1, s0
	v_cmp_gt_i32_e64 s0, 1, v21
	v_cvt_f64_f32_e32 v[8:9], v8
	v_lshrrev_b32_e32 v17, 16, v17
	v_and_or_b32 v16, 0xffe, v23, v16
	v_cndmask_b32_e64 v19, v19, v10, s0
	v_sub_nc_u32_e32 v10, 0x3f1, v24
	s_waitcnt lgkmcnt(0)
	v_lshrrev_b32_e32 v23, 16, v20
	v_add_nc_u32_e32 v24, 0xfffffc10, v24
	v_or_b32_e32 v28, 0x1000, v16
	v_and_b32_e32 v27, 7, v19
	v_med3_i32 v29, v10, 0, 13
	v_mul_f16_sdwa v30, v70, v23 dst_sel:DWORD dst_unused:UNUSED_PAD src0_sel:WORD_1 src1_sel:DWORD
	v_add_co_u32 v10, s0, v12, s6
	v_add_co_ci_u32_e64 v11, s0, s7, v13, s0
	v_lshrrev_b32_e32 v31, v29, v28
	v_fmac_f16_e32 v30, v70, v20
	v_cmp_lt_i32_e64 s0, 5, v27
	v_cmp_eq_u32_e64 s1, 3, v27
	v_lshrrev_b32_e32 v18, 2, v19
	v_lshlrev_b32_e32 v27, v29, v31
	v_cvt_f32_f16_e32 v19, v30
	v_mul_f64 v[8:9], v[8:9], s[4:5]
	s_or_b32 s0, s1, s0
	v_mul_f16_sdwa v20, v70, v20 dst_sel:DWORD dst_unused:UNUSED_PAD src0_sel:WORD_1 src1_sel:DWORD
	v_add_co_ci_u32_e64 v29, s0, 0, v18, s0
	v_cmp_ne_u32_e64 s0, v27, v28
	v_cvt_f64_f32_e32 v[18:19], v19
	v_lshl_or_b32 v28, v24, 12, v16
	v_fma_f16 v20, v70, v23, -v20
	v_cndmask_b32_e64 v27, 0, 1, s0
	v_cmp_ne_u32_e64 s0, 0, v14
	v_cvt_f32_f16_e32 v20, v20
	v_or_b32_e32 v27, v31, v27
	v_cndmask_b32_e64 v14, 0, 1, s0
	v_cmp_gt_i32_e64 s0, 31, v21
	v_lshl_or_b32 v14, v14, 9, 0x7c00
	v_cndmask_b32_e64 v23, 0x7c00, v29, s0
	v_cmp_gt_i32_e64 s0, 1, v24
	v_and_or_b32 v8, 0x1ff, v9, v8
	v_bfe_u32 v29, v9, 20, 11
	v_cndmask_b32_e64 v27, v28, v27, s0
	v_cmp_eq_u32_e64 s0, 0x40f, v21
	v_mul_f64 v[18:19], v[18:19], s[4:5]
	v_lshrrev_b32_e32 v28, 8, v9
	v_lshrrev_b32_e32 v9, 16, v9
	v_cndmask_b32_e64 v21, v23, v14, s0
	v_lshrrev_b32_e32 v23, 16, v15
	v_cvt_f64_f32_e32 v[14:15], v20
	v_cmp_ne_u32_e64 s0, 0, v8
	v_and_b32_e32 v20, 7, v27
	v_and_or_b32 v21, 0x8000, v23, v21
	v_and_b32_e32 v23, 0xffff, v26
	v_cndmask_b32_e64 v8, 0, 1, s0
	v_cmp_lt_i32_e64 s0, 5, v20
	v_cmp_eq_u32_e64 s1, 3, v20
	v_sub_nc_u32_e32 v26, 0x3f1, v29
	v_lshl_or_b32 v20, v21, 16, v23
	v_lshrrev_b32_e32 v21, 2, v27
	v_and_or_b32 v8, 0xffe, v28, v8
	s_or_b32 s0, s1, s0
	v_med3_i32 v26, v26, 0, 13
	v_add_co_ci_u32_e64 v21, s0, 0, v21, s0
	v_or_b32_e32 v23, 0x1000, v8
	v_cmp_ne_u32_e64 s0, 0, v16
	v_and_or_b32 v18, 0x1ff, v19, v18
	v_lshrrev_b32_e32 v28, 8, v19
	v_mul_f64 v[14:15], v[14:15], s[4:5]
	v_lshrrev_b32_e32 v27, v26, v23
	v_cndmask_b32_e64 v16, 0, 1, s0
	v_cmp_gt_i32_e64 s0, 31, v24
	v_bfe_u32 v30, v19, 20, 11
	v_lshrrev_b32_e32 v19, 16, v19
	v_lshlrev_b32_e32 v26, v26, v27
	v_lshl_or_b32 v16, v16, 9, 0x7c00
	v_cndmask_b32_e64 v21, 0x7c00, v21, s0
	v_cmp_ne_u32_e64 s0, 0, v18
	v_cndmask_b32_e64 v18, 0, 1, s0
	v_cmp_ne_u32_e64 s0, v26, v23
	v_add_nc_u32_e32 v26, 0xfffffc10, v29
	v_and_or_b32 v18, 0xffe, v28, v18
	v_cndmask_b32_e64 v23, 0, 1, s0
	v_sub_nc_u32_e32 v28, 0x3f1, v30
	v_cmp_eq_u32_e64 s0, 0x40f, v24
	v_and_or_b32 v14, 0x1ff, v15, v14
	v_or_b32_e32 v24, 0x1000, v18
	v_bfe_u32 v29, v15, 20, 11
	v_cndmask_b32_e64 v16, v21, v16, s0
	v_or_b32_e32 v21, v27, v23
	v_lshl_or_b32 v23, v26, 12, v8
	v_med3_i32 v27, v28, 0, 13
	v_cmp_gt_i32_e64 s0, 1, v26
	v_lshrrev_b32_e32 v28, 8, v15
	v_and_or_b32 v16, 0x8000, v17, v16
	v_sub_nc_u32_e32 v17, 0x3f1, v29
	v_cndmask_b32_e64 v21, v23, v21, s0
	v_lshrrev_b32_e32 v23, v27, v24
	v_cmp_ne_u32_e64 s0, 0, v14
	v_med3_i32 v17, v17, 0, 13
	v_and_b32_e32 v31, 7, v21
	v_lshlrev_b32_e32 v27, v27, v23
	v_cndmask_b32_e64 v14, 0, 1, s0
	v_lshrrev_b32_e32 v21, 2, v21
	v_cmp_lt_i32_e64 s0, 5, v31
	v_cmp_ne_u32_e64 s1, v27, v24
	v_and_or_b32 v14, 0xffe, v28, v14
	v_add_nc_u32_e32 v28, 0xfffffc10, v30
	v_cndmask_b32_e64 v24, 0, 1, s1
	v_cmp_eq_u32_e64 s1, 3, v31
	v_or_b32_e32 v27, 0x1000, v14
	v_lshl_or_b32 v30, v28, 12, v18
	v_or_b32_e32 v23, v23, v24
	s_or_b32 s0, s1, s0
	v_lshrrev_b32_e32 v24, v17, v27
	v_add_co_ci_u32_e64 v21, s0, 0, v21, s0
	v_cmp_gt_i32_e64 s0, 1, v28
	v_lshlrev_b32_e32 v17, v17, v24
	v_cndmask_b32_e64 v23, v30, v23, s0
	v_cmp_ne_u32_e64 s0, 0, v8
	v_cndmask_b32_e64 v8, 0, 1, s0
	v_cmp_ne_u32_e64 s0, v17, v27
	v_add_nc_u32_e32 v27, 0xfffffc10, v29
	v_and_b32_e32 v29, 7, v23
	v_lshl_or_b32 v8, v8, 9, 0x7c00
	v_cndmask_b32_e64 v17, 0, 1, s0
	v_cmp_gt_i32_e64 s0, 31, v26
	v_cmp_gt_i32_e64 s2, 1, v27
	v_cmp_eq_u32_e64 s1, 3, v29
	v_or_b32_e32 v17, v24, v17
	v_lshl_or_b32 v24, v27, 12, v14
	v_cndmask_b32_e64 v21, 0x7c00, v21, s0
	v_cmp_lt_i32_e64 s0, 5, v29
	v_cndmask_b32_e64 v17, v24, v17, s2
	v_cmp_eq_u32_e64 s2, 0x40f, v26
	s_or_b32 s0, s1, s0
	v_cndmask_b32_e64 v8, v21, v8, s2
	v_lshrrev_b32_e32 v21, 2, v23
	v_and_b32_e32 v23, 7, v17
	v_lshrrev_b32_e32 v17, 2, v17
	v_cmp_gt_i32_e64 s2, 31, v28
	v_and_or_b32 v8, 0x8000, v9, v8
	v_add_co_ci_u32_e64 v21, s0, 0, v21, s0
	v_cmp_ne_u32_e64 s0, 0, v18
	v_cmp_eq_u32_e64 s1, 3, v23
	v_and_b32_e32 v9, 0xffff, v16
	v_cndmask_b32_e64 v21, 0x7c00, v21, s2
	v_cndmask_b32_e64 v18, 0, 1, s0
	v_cmp_lt_i32_e64 s0, 5, v23
	v_lshl_or_b32 v18, v18, 9, 0x7c00
	s_or_b32 s0, s1, s0
	v_add_co_ci_u32_e64 v17, s0, 0, v17, s0
	v_cmp_ne_u32_e64 s0, 0, v14
	v_cndmask_b32_e64 v14, 0, 1, s0
	v_cmp_eq_u32_e64 s0, 0x40f, v28
	v_lshl_or_b32 v14, v14, 9, 0x7c00
	v_cndmask_b32_e64 v18, v21, v18, s0
	v_cmp_gt_i32_e64 s0, 31, v27
	v_and_or_b32 v16, 0x8000, v19, v18
	v_cndmask_b32_e64 v17, 0x7c00, v17, s0
	v_cmp_eq_u32_e64 s0, 0x40f, v27
	v_lshrrev_b32_e32 v18, 16, v15
	v_lshl_or_b32 v19, v8, 16, v9
	v_and_b32_e32 v9, 0xffff, v16
	v_cndmask_b32_e64 v17, v17, v14, s0
	v_add_co_u32 v14, s0, v10, s6
	v_add_co_ci_u32_e64 v15, s0, s7, v11, s0
	v_and_or_b32 v8, 0x8000, v18, v17
	v_add_co_u32 v16, s0, v14, s6
	v_add_co_ci_u32_e64 v17, s0, s7, v15, s0
	v_lshl_or_b32 v18, v8, 16, v9
	v_add_co_u32 v8, s0, v16, s6
	v_add_co_ci_u32_e64 v9, s0, s7, v17, s0
	global_store_dword v[12:13], v22, off
	global_store_dword v[10:11], v25, off
	;; [unrolled: 1-line block ×5, first 2 shown]
	s_and_b32 exec_lo, exec_lo, vcc_lo
	s_cbranch_execz .LBB0_15
; %bb.14:
	global_load_dword v12, v[6:7], off offset:396
	v_add_nc_u32_e32 v10, 0x100, v69
	v_mad_u64_u32 v[8:9], null, 0xffffe83c, s8, v[8:9]
	ds_read2_b32 v[10:11], v10 offset0:35 offset1:197
	s_waitcnt lgkmcnt(0)
	v_lshrrev_b32_e32 v13, 16, v10
	s_waitcnt vmcnt(0)
	v_mul_f16_sdwa v14, v13, v12 dst_sel:DWORD dst_unused:UNUSED_PAD src0_sel:DWORD src1_sel:WORD_1
	v_mul_f16_sdwa v15, v10, v12 dst_sel:DWORD dst_unused:UNUSED_PAD src0_sel:DWORD src1_sel:WORD_1
	v_fmac_f16_e32 v14, v10, v12
	v_fma_f16 v10, v12, v13, -v15
	v_cvt_f32_f16_e32 v12, v14
	v_cvt_f32_f16_e32 v10, v10
	v_cvt_f64_f32_e32 v[12:13], v12
	v_cvt_f64_f32_e32 v[14:15], v10
	v_mul_f64 v[12:13], v[12:13], s[4:5]
	v_mul_f64 v[14:15], v[14:15], s[4:5]
	v_and_or_b32 v10, 0x1ff, v13, v12
	v_and_or_b32 v14, 0x1ff, v15, v14
	v_lshrrev_b32_e32 v12, 8, v13
	v_bfe_u32 v16, v13, 20, 11
	v_lshrrev_b32_e32 v17, 8, v15
	v_cmp_ne_u32_e32 vcc_lo, 0, v10
	v_bfe_u32 v18, v15, 20, 11
	v_lshrrev_b32_e32 v13, 16, v13
	v_sub_nc_u32_e32 v19, 0x3f1, v16
	v_add_nc_u32_e32 v16, 0xfffffc10, v16
	v_cndmask_b32_e64 v10, 0, 1, vcc_lo
	v_cmp_ne_u32_e32 vcc_lo, 0, v14
	v_lshrrev_b32_e32 v15, 16, v15
	v_and_or_b32 v10, 0xffe, v12, v10
	v_cndmask_b32_e64 v14, 0, 1, vcc_lo
	v_sub_nc_u32_e32 v12, 0x3f1, v18
	v_add_nc_u32_e32 v18, 0xfffffc10, v18
	v_and_or_b32 v14, 0xffe, v17, v14
	v_med3_i32 v17, v19, 0, 13
	v_or_b32_e32 v19, 0x1000, v10
	v_med3_i32 v12, v12, 0, 13
	v_or_b32_e32 v20, 0x1000, v14
	v_lshrrev_b32_e32 v21, v17, v19
	v_lshrrev_b32_e32 v22, v12, v20
	v_lshlrev_b32_e32 v17, v17, v21
	v_lshlrev_b32_e32 v12, v12, v22
	v_cmp_ne_u32_e32 vcc_lo, v17, v19
	v_lshl_or_b32 v19, v16, 12, v10
	v_cndmask_b32_e64 v17, 0, 1, vcc_lo
	v_cmp_ne_u32_e32 vcc_lo, v12, v20
	v_lshl_or_b32 v20, v18, 12, v14
	v_or_b32_e32 v17, v21, v17
	v_cndmask_b32_e64 v12, 0, 1, vcc_lo
	v_cmp_gt_i32_e32 vcc_lo, 1, v16
	v_or_b32_e32 v12, v22, v12
	v_cndmask_b32_e32 v17, v19, v17, vcc_lo
	v_cmp_gt_i32_e32 vcc_lo, 1, v18
	v_and_b32_e32 v19, 7, v17
	v_cndmask_b32_e32 v12, v20, v12, vcc_lo
	v_cmp_ne_u32_e32 vcc_lo, 0, v10
	v_lshrrev_b32_e32 v17, 2, v17
	v_cmp_eq_u32_e64 s0, 3, v19
	v_and_b32_e32 v20, 7, v12
	v_cndmask_b32_e64 v10, 0, 1, vcc_lo
	v_cmp_ne_u32_e32 vcc_lo, 0, v14
	v_lshrrev_b32_e32 v12, 2, v12
	v_cmp_lt_i32_e64 s1, 5, v20
	v_cmp_eq_u32_e64 s2, 3, v20
	v_cndmask_b32_e64 v14, 0, 1, vcc_lo
	v_cmp_lt_i32_e32 vcc_lo, 5, v19
	v_lshl_or_b32 v10, v10, 9, 0x7c00
	v_lshl_or_b32 v14, v14, 9, 0x7c00
	s_or_b32 vcc_lo, s0, vcc_lo
	s_mul_i32 s0, s9, 0xffffe83c
	v_add_co_ci_u32_e32 v17, vcc_lo, 0, v17, vcc_lo
	s_or_b32 vcc_lo, s2, s1
	s_sub_i32 s0, s0, s8
	v_add_co_ci_u32_e32 v12, vcc_lo, 0, v12, vcc_lo
	v_cmp_gt_i32_e32 vcc_lo, 31, v16
	v_add_nc_u32_e32 v9, s0, v9
	v_cndmask_b32_e32 v17, 0x7c00, v17, vcc_lo
	v_cmp_gt_i32_e32 vcc_lo, 31, v18
	v_cndmask_b32_e32 v12, 0x7c00, v12, vcc_lo
	v_cmp_eq_u32_e32 vcc_lo, 0x40f, v16
	v_cndmask_b32_e32 v10, v17, v10, vcc_lo
	v_cmp_eq_u32_e32 vcc_lo, 0x40f, v18
	v_and_or_b32 v10, 0x8000, v13, v10
	v_cndmask_b32_e32 v12, v12, v14, vcc_lo
	v_and_b32_e32 v10, 0xffff, v10
	v_and_or_b32 v12, 0x8000, v15, v12
	v_lshl_or_b32 v10, v12, 16, v10
	v_lshrrev_b32_e32 v12, 16, v11
	global_store_dword v[8:9], v10, off
	global_load_dword v10, v[6:7], off offset:1044
	s_waitcnt vmcnt(0)
	v_mul_f16_sdwa v13, v12, v10 dst_sel:DWORD dst_unused:UNUSED_PAD src0_sel:DWORD src1_sel:WORD_1
	v_mul_f16_sdwa v14, v11, v10 dst_sel:DWORD dst_unused:UNUSED_PAD src0_sel:DWORD src1_sel:WORD_1
	v_fmac_f16_e32 v13, v11, v10
	v_fma_f16 v10, v10, v12, -v14
	v_cvt_f32_f16_e32 v11, v13
	v_cvt_f32_f16_e32 v12, v10
	v_cvt_f64_f32_e32 v[10:11], v11
	v_cvt_f64_f32_e32 v[12:13], v12
	v_mul_f64 v[10:11], v[10:11], s[4:5]
	v_mul_f64 v[12:13], v[12:13], s[4:5]
	v_and_or_b32 v10, 0x1ff, v11, v10
	v_and_or_b32 v12, 0x1ff, v13, v12
	v_lshrrev_b32_e32 v14, 8, v11
	v_bfe_u32 v15, v11, 20, 11
	v_lshrrev_b32_e32 v16, 8, v13
	v_cmp_ne_u32_e32 vcc_lo, 0, v10
	v_bfe_u32 v17, v13, 20, 11
	v_lshrrev_b32_e32 v11, 16, v11
	v_sub_nc_u32_e32 v18, 0x3f1, v15
	v_add_nc_u32_e32 v15, 0xfffffc10, v15
	v_cndmask_b32_e64 v10, 0, 1, vcc_lo
	v_cmp_ne_u32_e32 vcc_lo, 0, v12
	v_lshrrev_b32_e32 v13, 16, v13
	v_and_or_b32 v10, 0xffe, v14, v10
	v_cndmask_b32_e64 v12, 0, 1, vcc_lo
	v_sub_nc_u32_e32 v14, 0x3f1, v17
	v_add_nc_u32_e32 v17, 0xfffffc10, v17
	v_and_or_b32 v12, 0xffe, v16, v12
	v_med3_i32 v16, v18, 0, 13
	v_or_b32_e32 v18, 0x1000, v10
	v_med3_i32 v14, v14, 0, 13
	v_or_b32_e32 v19, 0x1000, v12
	v_lshrrev_b32_e32 v20, v16, v18
	v_lshrrev_b32_e32 v21, v14, v19
	v_lshlrev_b32_e32 v16, v16, v20
	v_lshlrev_b32_e32 v14, v14, v21
	v_cmp_ne_u32_e32 vcc_lo, v16, v18
	v_lshl_or_b32 v18, v15, 12, v10
	v_cndmask_b32_e64 v16, 0, 1, vcc_lo
	v_cmp_ne_u32_e32 vcc_lo, v14, v19
	v_lshl_or_b32 v19, v17, 12, v12
	v_or_b32_e32 v16, v20, v16
	v_cndmask_b32_e64 v14, 0, 1, vcc_lo
	v_cmp_gt_i32_e32 vcc_lo, 1, v15
	v_or_b32_e32 v14, v21, v14
	v_cndmask_b32_e32 v16, v18, v16, vcc_lo
	v_cmp_gt_i32_e32 vcc_lo, 1, v17
	v_and_b32_e32 v18, 7, v16
	v_cndmask_b32_e32 v14, v19, v14, vcc_lo
	v_cmp_ne_u32_e32 vcc_lo, 0, v10
	v_lshrrev_b32_e32 v16, 2, v16
	v_cmp_eq_u32_e64 s0, 3, v18
	v_and_b32_e32 v19, 7, v14
	v_cndmask_b32_e64 v10, 0, 1, vcc_lo
	v_cmp_ne_u32_e32 vcc_lo, 0, v12
	v_lshrrev_b32_e32 v14, 2, v14
	v_cmp_lt_i32_e64 s1, 5, v19
	v_cmp_eq_u32_e64 s2, 3, v19
	v_cndmask_b32_e64 v12, 0, 1, vcc_lo
	v_cmp_lt_i32_e32 vcc_lo, 5, v18
	v_lshl_or_b32 v10, v10, 9, 0x7c00
	v_lshl_or_b32 v12, v12, 9, 0x7c00
	s_or_b32 vcc_lo, s0, vcc_lo
	v_add_co_ci_u32_e32 v16, vcc_lo, 0, v16, vcc_lo
	s_or_b32 vcc_lo, s2, s1
	v_add_co_ci_u32_e32 v14, vcc_lo, 0, v14, vcc_lo
	v_cmp_gt_i32_e32 vcc_lo, 31, v15
	v_cndmask_b32_e32 v16, 0x7c00, v16, vcc_lo
	v_cmp_gt_i32_e32 vcc_lo, 31, v17
	v_cndmask_b32_e32 v14, 0x7c00, v14, vcc_lo
	v_cmp_eq_u32_e32 vcc_lo, 0x40f, v15
	v_cndmask_b32_e32 v10, v16, v10, vcc_lo
	v_cmp_eq_u32_e32 vcc_lo, 0x40f, v17
	v_and_or_b32 v10, 0x8000, v11, v10
	v_cndmask_b32_e32 v12, v14, v12, vcc_lo
	v_add_co_u32 v8, vcc_lo, v8, s6
	v_add_co_ci_u32_e32 v9, vcc_lo, s7, v9, vcc_lo
	v_and_or_b32 v11, 0x8000, v13, v12
	v_and_b32_e32 v10, 0xffff, v10
	v_lshl_or_b32 v10, v11, 16, v10
	global_store_dword v[8:9], v10, off
	global_load_dword v10, v[6:7], off offset:1692
	v_add_nc_u32_e32 v6, 0x600, v69
	ds_read2_b32 v[6:7], v6 offset0:39 offset1:201
	s_waitcnt lgkmcnt(0)
	v_lshrrev_b32_e32 v11, 16, v6
	s_waitcnt vmcnt(0)
	v_mul_f16_sdwa v12, v11, v10 dst_sel:DWORD dst_unused:UNUSED_PAD src0_sel:DWORD src1_sel:WORD_1
	v_mul_f16_sdwa v13, v6, v10 dst_sel:DWORD dst_unused:UNUSED_PAD src0_sel:DWORD src1_sel:WORD_1
	v_fmac_f16_e32 v12, v6, v10
	v_fma_f16 v6, v10, v11, -v13
	v_cvt_f32_f16_e32 v10, v12
	v_cvt_f32_f16_e32 v6, v6
	v_cvt_f64_f32_e32 v[10:11], v10
	v_cvt_f64_f32_e32 v[12:13], v6
	v_mul_f64 v[10:11], v[10:11], s[4:5]
	v_mul_f64 v[12:13], v[12:13], s[4:5]
	v_and_or_b32 v6, 0x1ff, v11, v10
	v_and_or_b32 v12, 0x1ff, v13, v12
	v_lshrrev_b32_e32 v10, 8, v11
	v_bfe_u32 v14, v11, 20, 11
	v_lshrrev_b32_e32 v15, 8, v13
	v_cmp_ne_u32_e32 vcc_lo, 0, v6
	v_bfe_u32 v16, v13, 20, 11
	v_lshrrev_b32_e32 v11, 16, v11
	v_sub_nc_u32_e32 v17, 0x3f1, v14
	v_add_nc_u32_e32 v14, 0xfffffc10, v14
	v_cndmask_b32_e64 v6, 0, 1, vcc_lo
	v_cmp_ne_u32_e32 vcc_lo, 0, v12
	v_lshrrev_b32_e32 v13, 16, v13
	v_and_or_b32 v6, 0xffe, v10, v6
	v_cndmask_b32_e64 v12, 0, 1, vcc_lo
	v_sub_nc_u32_e32 v10, 0x3f1, v16
	v_add_nc_u32_e32 v16, 0xfffffc10, v16
	v_and_or_b32 v12, 0xffe, v15, v12
	v_med3_i32 v15, v17, 0, 13
	v_or_b32_e32 v17, 0x1000, v6
	v_med3_i32 v10, v10, 0, 13
	v_or_b32_e32 v18, 0x1000, v12
	v_lshrrev_b32_e32 v19, v15, v17
	v_lshrrev_b32_e32 v20, v10, v18
	v_lshlrev_b32_e32 v15, v15, v19
	v_lshlrev_b32_e32 v10, v10, v20
	v_cmp_ne_u32_e32 vcc_lo, v15, v17
	v_lshl_or_b32 v17, v14, 12, v6
	v_cndmask_b32_e64 v15, 0, 1, vcc_lo
	v_cmp_ne_u32_e32 vcc_lo, v10, v18
	v_lshl_or_b32 v18, v16, 12, v12
	v_or_b32_e32 v15, v19, v15
	v_cndmask_b32_e64 v10, 0, 1, vcc_lo
	v_cmp_gt_i32_e32 vcc_lo, 1, v14
	v_or_b32_e32 v10, v20, v10
	v_cndmask_b32_e32 v15, v17, v15, vcc_lo
	v_cmp_gt_i32_e32 vcc_lo, 1, v16
	v_and_b32_e32 v17, 7, v15
	v_cndmask_b32_e32 v10, v18, v10, vcc_lo
	v_cmp_ne_u32_e32 vcc_lo, 0, v6
	v_lshrrev_b32_e32 v15, 2, v15
	v_cmp_eq_u32_e64 s0, 3, v17
	v_and_b32_e32 v18, 7, v10
	v_cndmask_b32_e64 v6, 0, 1, vcc_lo
	v_cmp_ne_u32_e32 vcc_lo, 0, v12
	v_lshrrev_b32_e32 v10, 2, v10
	v_cmp_lt_i32_e64 s1, 5, v18
	v_cmp_eq_u32_e64 s2, 3, v18
	v_cndmask_b32_e64 v12, 0, 1, vcc_lo
	v_cmp_lt_i32_e32 vcc_lo, 5, v17
	v_lshl_or_b32 v6, v6, 9, 0x7c00
	v_lshl_or_b32 v12, v12, 9, 0x7c00
	s_or_b32 vcc_lo, s0, vcc_lo
	v_add_co_ci_u32_e32 v15, vcc_lo, 0, v15, vcc_lo
	s_or_b32 vcc_lo, s2, s1
	v_add_co_ci_u32_e32 v10, vcc_lo, 0, v10, vcc_lo
	v_cmp_gt_i32_e32 vcc_lo, 31, v14
	v_cndmask_b32_e32 v15, 0x7c00, v15, vcc_lo
	v_cmp_gt_i32_e32 vcc_lo, 31, v16
	v_cndmask_b32_e32 v10, 0x7c00, v10, vcc_lo
	v_cmp_eq_u32_e32 vcc_lo, 0x40f, v14
	v_cndmask_b32_e32 v6, v15, v6, vcc_lo
	v_cmp_eq_u32_e32 vcc_lo, 0x40f, v16
	v_and_or_b32 v6, 0x8000, v11, v6
	v_cndmask_b32_e32 v10, v10, v12, vcc_lo
	v_add_co_u32 v8, vcc_lo, v8, s6
	v_add_co_ci_u32_e32 v9, vcc_lo, s7, v9, vcc_lo
	v_and_or_b32 v10, 0x8000, v13, v10
	v_and_b32_e32 v6, 0xffff, v6
	v_lshl_or_b32 v6, v10, 16, v6
	v_lshrrev_b32_e32 v10, 16, v7
	global_store_dword v[8:9], v6, off
	global_load_dword v6, v[4:5], off offset:292
	s_waitcnt vmcnt(0)
	v_mul_f16_sdwa v11, v10, v6 dst_sel:DWORD dst_unused:UNUSED_PAD src0_sel:DWORD src1_sel:WORD_1
	v_mul_f16_sdwa v12, v7, v6 dst_sel:DWORD dst_unused:UNUSED_PAD src0_sel:DWORD src1_sel:WORD_1
	v_fmac_f16_e32 v11, v7, v6
	v_fma_f16 v6, v6, v10, -v12
	v_cvt_f32_f16_e32 v7, v11
	v_cvt_f32_f16_e32 v10, v6
	v_cvt_f64_f32_e32 v[6:7], v7
	v_cvt_f64_f32_e32 v[10:11], v10
	v_mul_f64 v[6:7], v[6:7], s[4:5]
	v_mul_f64 v[10:11], v[10:11], s[4:5]
	v_and_or_b32 v6, 0x1ff, v7, v6
	v_and_or_b32 v10, 0x1ff, v11, v10
	v_lshrrev_b32_e32 v12, 8, v7
	v_bfe_u32 v13, v7, 20, 11
	v_lshrrev_b32_e32 v14, 8, v11
	v_cmp_ne_u32_e32 vcc_lo, 0, v6
	v_bfe_u32 v15, v11, 20, 11
	v_lshrrev_b32_e32 v7, 16, v7
	v_sub_nc_u32_e32 v16, 0x3f1, v13
	v_add_nc_u32_e32 v13, 0xfffffc10, v13
	v_cndmask_b32_e64 v6, 0, 1, vcc_lo
	v_cmp_ne_u32_e32 vcc_lo, 0, v10
	v_lshrrev_b32_e32 v11, 16, v11
	v_and_or_b32 v6, 0xffe, v12, v6
	v_cndmask_b32_e64 v10, 0, 1, vcc_lo
	v_sub_nc_u32_e32 v12, 0x3f1, v15
	v_add_nc_u32_e32 v15, 0xfffffc10, v15
	v_and_or_b32 v10, 0xffe, v14, v10
	v_med3_i32 v14, v16, 0, 13
	v_or_b32_e32 v16, 0x1000, v6
	v_med3_i32 v12, v12, 0, 13
	v_or_b32_e32 v17, 0x1000, v10
	v_lshrrev_b32_e32 v18, v14, v16
	v_lshrrev_b32_e32 v19, v12, v17
	v_lshlrev_b32_e32 v14, v14, v18
	v_lshlrev_b32_e32 v12, v12, v19
	v_cmp_ne_u32_e32 vcc_lo, v14, v16
	v_lshl_or_b32 v16, v13, 12, v6
	v_cndmask_b32_e64 v14, 0, 1, vcc_lo
	v_cmp_ne_u32_e32 vcc_lo, v12, v17
	v_lshl_or_b32 v17, v15, 12, v10
	v_or_b32_e32 v14, v18, v14
	v_cndmask_b32_e64 v12, 0, 1, vcc_lo
	v_cmp_gt_i32_e32 vcc_lo, 1, v13
	v_or_b32_e32 v12, v19, v12
	v_cndmask_b32_e32 v14, v16, v14, vcc_lo
	v_cmp_gt_i32_e32 vcc_lo, 1, v15
	v_and_b32_e32 v16, 7, v14
	v_cndmask_b32_e32 v12, v17, v12, vcc_lo
	v_cmp_ne_u32_e32 vcc_lo, 0, v6
	v_lshrrev_b32_e32 v14, 2, v14
	v_cmp_eq_u32_e64 s0, 3, v16
	v_and_b32_e32 v17, 7, v12
	v_cndmask_b32_e64 v6, 0, 1, vcc_lo
	v_cmp_ne_u32_e32 vcc_lo, 0, v10
	v_lshrrev_b32_e32 v12, 2, v12
	v_cmp_lt_i32_e64 s1, 5, v17
	v_cmp_eq_u32_e64 s2, 3, v17
	v_cndmask_b32_e64 v10, 0, 1, vcc_lo
	v_cmp_lt_i32_e32 vcc_lo, 5, v16
	v_lshl_or_b32 v6, v6, 9, 0x7c00
	v_lshl_or_b32 v10, v10, 9, 0x7c00
	s_or_b32 vcc_lo, s0, vcc_lo
	v_add_co_ci_u32_e32 v14, vcc_lo, 0, v14, vcc_lo
	s_or_b32 vcc_lo, s2, s1
	v_add_co_ci_u32_e32 v12, vcc_lo, 0, v12, vcc_lo
	v_cmp_gt_i32_e32 vcc_lo, 31, v13
	v_cndmask_b32_e32 v14, 0x7c00, v14, vcc_lo
	v_cmp_gt_i32_e32 vcc_lo, 31, v15
	v_cndmask_b32_e32 v12, 0x7c00, v12, vcc_lo
	v_cmp_eq_u32_e32 vcc_lo, 0x40f, v13
	v_cndmask_b32_e32 v6, v14, v6, vcc_lo
	v_cmp_eq_u32_e32 vcc_lo, 0x40f, v15
	v_and_or_b32 v6, 0x8000, v7, v6
	v_cndmask_b32_e32 v10, v12, v10, vcc_lo
	v_and_or_b32 v10, 0x8000, v11, v10
	v_and_b32_e32 v11, 0xffff, v6
	v_add_co_u32 v6, vcc_lo, v8, s6
	v_add_co_ci_u32_e32 v7, vcc_lo, s7, v9, vcc_lo
	v_lshl_or_b32 v8, v10, 16, v11
	global_store_dword v[6:7], v8, off
	global_load_dword v10, v[4:5], off offset:940
	v_add_nc_u32_e32 v8, 0xb00, v69
	ds_read2_b32 v[8:9], v8 offset0:43 offset1:205
	s_waitcnt lgkmcnt(0)
	v_lshrrev_b32_e32 v11, 16, v8
	s_waitcnt vmcnt(0)
	v_mul_f16_sdwa v12, v11, v10 dst_sel:DWORD dst_unused:UNUSED_PAD src0_sel:DWORD src1_sel:WORD_1
	v_mul_f16_sdwa v13, v8, v10 dst_sel:DWORD dst_unused:UNUSED_PAD src0_sel:DWORD src1_sel:WORD_1
	v_fmac_f16_e32 v12, v8, v10
	v_fma_f16 v8, v10, v11, -v13
	v_cvt_f32_f16_e32 v10, v12
	v_cvt_f32_f16_e32 v8, v8
	v_cvt_f64_f32_e32 v[10:11], v10
	v_cvt_f64_f32_e32 v[12:13], v8
	v_mul_f64 v[10:11], v[10:11], s[4:5]
	v_mul_f64 v[12:13], v[12:13], s[4:5]
	v_and_or_b32 v8, 0x1ff, v11, v10
	v_and_or_b32 v12, 0x1ff, v13, v12
	v_lshrrev_b32_e32 v10, 8, v11
	v_bfe_u32 v14, v11, 20, 11
	v_lshrrev_b32_e32 v15, 8, v13
	v_cmp_ne_u32_e32 vcc_lo, 0, v8
	v_bfe_u32 v16, v13, 20, 11
	v_lshrrev_b32_e32 v11, 16, v11
	v_sub_nc_u32_e32 v17, 0x3f1, v14
	v_add_nc_u32_e32 v14, 0xfffffc10, v14
	v_cndmask_b32_e64 v8, 0, 1, vcc_lo
	v_cmp_ne_u32_e32 vcc_lo, 0, v12
	v_lshrrev_b32_e32 v13, 16, v13
	v_and_or_b32 v8, 0xffe, v10, v8
	v_cndmask_b32_e64 v12, 0, 1, vcc_lo
	v_sub_nc_u32_e32 v10, 0x3f1, v16
	v_add_nc_u32_e32 v16, 0xfffffc10, v16
	v_and_or_b32 v12, 0xffe, v15, v12
	v_med3_i32 v15, v17, 0, 13
	v_or_b32_e32 v17, 0x1000, v8
	v_med3_i32 v10, v10, 0, 13
	v_or_b32_e32 v18, 0x1000, v12
	v_lshrrev_b32_e32 v19, v15, v17
	v_lshrrev_b32_e32 v20, v10, v18
	v_lshlrev_b32_e32 v15, v15, v19
	v_lshlrev_b32_e32 v10, v10, v20
	v_cmp_ne_u32_e32 vcc_lo, v15, v17
	v_lshl_or_b32 v17, v14, 12, v8
	v_cndmask_b32_e64 v15, 0, 1, vcc_lo
	v_cmp_ne_u32_e32 vcc_lo, v10, v18
	v_lshl_or_b32 v18, v16, 12, v12
	v_or_b32_e32 v15, v19, v15
	v_cndmask_b32_e64 v10, 0, 1, vcc_lo
	v_cmp_gt_i32_e32 vcc_lo, 1, v14
	v_or_b32_e32 v10, v20, v10
	v_cndmask_b32_e32 v15, v17, v15, vcc_lo
	v_cmp_gt_i32_e32 vcc_lo, 1, v16
	v_and_b32_e32 v17, 7, v15
	v_cndmask_b32_e32 v10, v18, v10, vcc_lo
	v_cmp_ne_u32_e32 vcc_lo, 0, v8
	v_lshrrev_b32_e32 v15, 2, v15
	v_cmp_eq_u32_e64 s0, 3, v17
	v_and_b32_e32 v18, 7, v10
	v_cndmask_b32_e64 v8, 0, 1, vcc_lo
	v_cmp_ne_u32_e32 vcc_lo, 0, v12
	v_lshrrev_b32_e32 v10, 2, v10
	v_cmp_lt_i32_e64 s1, 5, v18
	v_cmp_eq_u32_e64 s2, 3, v18
	v_cndmask_b32_e64 v12, 0, 1, vcc_lo
	v_cmp_lt_i32_e32 vcc_lo, 5, v17
	v_lshl_or_b32 v8, v8, 9, 0x7c00
	v_lshl_or_b32 v12, v12, 9, 0x7c00
	s_or_b32 vcc_lo, s0, vcc_lo
	v_add_co_ci_u32_e32 v15, vcc_lo, 0, v15, vcc_lo
	s_or_b32 vcc_lo, s2, s1
	v_add_co_ci_u32_e32 v10, vcc_lo, 0, v10, vcc_lo
	v_cmp_gt_i32_e32 vcc_lo, 31, v14
	v_cndmask_b32_e32 v15, 0x7c00, v15, vcc_lo
	v_cmp_gt_i32_e32 vcc_lo, 31, v16
	v_cndmask_b32_e32 v10, 0x7c00, v10, vcc_lo
	v_cmp_eq_u32_e32 vcc_lo, 0x40f, v14
	v_cndmask_b32_e32 v8, v15, v8, vcc_lo
	v_cmp_eq_u32_e32 vcc_lo, 0x40f, v16
	v_and_or_b32 v8, 0x8000, v11, v8
	v_cndmask_b32_e32 v10, v10, v12, vcc_lo
	v_add_co_u32 v6, vcc_lo, v6, s6
	v_add_co_ci_u32_e32 v7, vcc_lo, s7, v7, vcc_lo
	v_and_or_b32 v10, 0x8000, v13, v10
	v_and_b32_e32 v8, 0xffff, v8
	v_lshl_or_b32 v8, v10, 16, v8
	global_store_dword v[6:7], v8, off
	global_load_dword v4, v[4:5], off offset:1588
	v_lshrrev_b32_e32 v5, 16, v9
	s_waitcnt vmcnt(0)
	v_mul_f16_sdwa v8, v5, v4 dst_sel:DWORD dst_unused:UNUSED_PAD src0_sel:DWORD src1_sel:WORD_1
	v_mul_f16_sdwa v10, v9, v4 dst_sel:DWORD dst_unused:UNUSED_PAD src0_sel:DWORD src1_sel:WORD_1
	v_fmac_f16_e32 v8, v9, v4
	v_fma_f16 v4, v4, v5, -v10
	v_cvt_f32_f16_e32 v5, v8
	v_cvt_f32_f16_e32 v8, v4
	v_cvt_f64_f32_e32 v[4:5], v5
	v_cvt_f64_f32_e32 v[8:9], v8
	v_mul_f64 v[4:5], v[4:5], s[4:5]
	v_mul_f64 v[8:9], v[8:9], s[4:5]
	v_and_or_b32 v4, 0x1ff, v5, v4
	v_and_or_b32 v8, 0x1ff, v9, v8
	v_lshrrev_b32_e32 v10, 8, v5
	v_bfe_u32 v11, v5, 20, 11
	v_lshrrev_b32_e32 v12, 8, v9
	v_cmp_ne_u32_e32 vcc_lo, 0, v4
	v_bfe_u32 v13, v9, 20, 11
	v_lshrrev_b32_e32 v5, 16, v5
	v_sub_nc_u32_e32 v14, 0x3f1, v11
	v_add_nc_u32_e32 v11, 0xfffffc10, v11
	v_cndmask_b32_e64 v4, 0, 1, vcc_lo
	v_cmp_ne_u32_e32 vcc_lo, 0, v8
	v_lshrrev_b32_e32 v9, 16, v9
	v_and_or_b32 v4, 0xffe, v10, v4
	v_cndmask_b32_e64 v8, 0, 1, vcc_lo
	v_sub_nc_u32_e32 v10, 0x3f1, v13
	v_add_nc_u32_e32 v13, 0xfffffc10, v13
	v_and_or_b32 v8, 0xffe, v12, v8
	v_med3_i32 v12, v14, 0, 13
	v_or_b32_e32 v14, 0x1000, v4
	v_med3_i32 v10, v10, 0, 13
	v_or_b32_e32 v15, 0x1000, v8
	v_lshrrev_b32_e32 v16, v12, v14
	v_lshrrev_b32_e32 v17, v10, v15
	v_lshlrev_b32_e32 v12, v12, v16
	v_lshlrev_b32_e32 v10, v10, v17
	v_cmp_ne_u32_e32 vcc_lo, v12, v14
	v_lshl_or_b32 v14, v11, 12, v4
	v_cndmask_b32_e64 v12, 0, 1, vcc_lo
	v_cmp_ne_u32_e32 vcc_lo, v10, v15
	v_lshl_or_b32 v15, v13, 12, v8
	v_or_b32_e32 v12, v16, v12
	v_cndmask_b32_e64 v10, 0, 1, vcc_lo
	v_cmp_gt_i32_e32 vcc_lo, 1, v11
	v_or_b32_e32 v10, v17, v10
	v_cndmask_b32_e32 v12, v14, v12, vcc_lo
	v_cmp_gt_i32_e32 vcc_lo, 1, v13
	v_and_b32_e32 v14, 7, v12
	v_cndmask_b32_e32 v10, v15, v10, vcc_lo
	v_cmp_ne_u32_e32 vcc_lo, 0, v4
	v_lshrrev_b32_e32 v12, 2, v12
	v_cmp_eq_u32_e64 s0, 3, v14
	v_and_b32_e32 v15, 7, v10
	v_cndmask_b32_e64 v4, 0, 1, vcc_lo
	v_cmp_ne_u32_e32 vcc_lo, 0, v8
	v_lshrrev_b32_e32 v10, 2, v10
	v_cmp_lt_i32_e64 s1, 5, v15
	v_cmp_eq_u32_e64 s2, 3, v15
	v_cndmask_b32_e64 v8, 0, 1, vcc_lo
	v_cmp_lt_i32_e32 vcc_lo, 5, v14
	v_lshl_or_b32 v4, v4, 9, 0x7c00
	v_lshl_or_b32 v8, v8, 9, 0x7c00
	s_or_b32 vcc_lo, s0, vcc_lo
	v_add_co_ci_u32_e32 v12, vcc_lo, 0, v12, vcc_lo
	s_or_b32 vcc_lo, s2, s1
	v_add_co_ci_u32_e32 v10, vcc_lo, 0, v10, vcc_lo
	v_cmp_gt_i32_e32 vcc_lo, 31, v11
	v_cndmask_b32_e32 v12, 0x7c00, v12, vcc_lo
	v_cmp_gt_i32_e32 vcc_lo, 31, v13
	v_cndmask_b32_e32 v10, 0x7c00, v10, vcc_lo
	v_cmp_eq_u32_e32 vcc_lo, 0x40f, v11
	v_cndmask_b32_e32 v4, v12, v4, vcc_lo
	v_cmp_eq_u32_e32 vcc_lo, 0x40f, v13
	v_and_or_b32 v4, 0x8000, v5, v4
	v_cndmask_b32_e32 v8, v10, v8, vcc_lo
	v_and_or_b32 v8, 0x8000, v9, v8
	v_and_b32_e32 v9, 0xffff, v4
	v_add_co_u32 v4, vcc_lo, v6, s6
	v_add_co_ci_u32_e32 v5, vcc_lo, s7, v7, vcc_lo
	v_lshl_or_b32 v6, v8, 16, v9
	global_store_dword v[4:5], v6, off
	global_load_dword v8, v[2:3], off offset:188
	v_add_nc_u32_e32 v6, 0x1000, v69
	ds_read2_b32 v[6:7], v6 offset0:47 offset1:209
	s_waitcnt lgkmcnt(0)
	v_lshrrev_b32_e32 v9, 16, v6
	s_waitcnt vmcnt(0)
	v_mul_f16_sdwa v10, v9, v8 dst_sel:DWORD dst_unused:UNUSED_PAD src0_sel:DWORD src1_sel:WORD_1
	v_mul_f16_sdwa v11, v6, v8 dst_sel:DWORD dst_unused:UNUSED_PAD src0_sel:DWORD src1_sel:WORD_1
	v_fmac_f16_e32 v10, v6, v8
	v_fma_f16 v6, v8, v9, -v11
	v_cvt_f32_f16_e32 v8, v10
	v_cvt_f32_f16_e32 v6, v6
	v_cvt_f64_f32_e32 v[8:9], v8
	v_cvt_f64_f32_e32 v[10:11], v6
	v_mul_f64 v[8:9], v[8:9], s[4:5]
	v_mul_f64 v[10:11], v[10:11], s[4:5]
	v_and_or_b32 v6, 0x1ff, v9, v8
	v_and_or_b32 v10, 0x1ff, v11, v10
	v_lshrrev_b32_e32 v8, 8, v9
	v_bfe_u32 v12, v9, 20, 11
	v_lshrrev_b32_e32 v13, 8, v11
	v_cmp_ne_u32_e32 vcc_lo, 0, v6
	v_bfe_u32 v14, v11, 20, 11
	v_lshrrev_b32_e32 v9, 16, v9
	v_sub_nc_u32_e32 v15, 0x3f1, v12
	v_add_nc_u32_e32 v12, 0xfffffc10, v12
	v_cndmask_b32_e64 v6, 0, 1, vcc_lo
	v_cmp_ne_u32_e32 vcc_lo, 0, v10
	v_lshrrev_b32_e32 v11, 16, v11
	v_and_or_b32 v6, 0xffe, v8, v6
	v_cndmask_b32_e64 v10, 0, 1, vcc_lo
	v_sub_nc_u32_e32 v8, 0x3f1, v14
	v_add_nc_u32_e32 v14, 0xfffffc10, v14
	v_and_or_b32 v10, 0xffe, v13, v10
	v_med3_i32 v13, v15, 0, 13
	v_or_b32_e32 v15, 0x1000, v6
	v_med3_i32 v8, v8, 0, 13
	v_or_b32_e32 v16, 0x1000, v10
	v_lshrrev_b32_e32 v17, v13, v15
	v_lshrrev_b32_e32 v18, v8, v16
	v_lshlrev_b32_e32 v13, v13, v17
	v_lshlrev_b32_e32 v8, v8, v18
	v_cmp_ne_u32_e32 vcc_lo, v13, v15
	v_lshl_or_b32 v15, v12, 12, v6
	v_cndmask_b32_e64 v13, 0, 1, vcc_lo
	v_cmp_ne_u32_e32 vcc_lo, v8, v16
	v_lshl_or_b32 v16, v14, 12, v10
	v_or_b32_e32 v13, v17, v13
	v_cndmask_b32_e64 v8, 0, 1, vcc_lo
	v_cmp_gt_i32_e32 vcc_lo, 1, v12
	v_or_b32_e32 v8, v18, v8
	v_cndmask_b32_e32 v13, v15, v13, vcc_lo
	v_cmp_gt_i32_e32 vcc_lo, 1, v14
	v_and_b32_e32 v15, 7, v13
	v_cndmask_b32_e32 v8, v16, v8, vcc_lo
	v_cmp_ne_u32_e32 vcc_lo, 0, v6
	v_lshrrev_b32_e32 v13, 2, v13
	v_cmp_eq_u32_e64 s0, 3, v15
	v_and_b32_e32 v16, 7, v8
	v_cndmask_b32_e64 v6, 0, 1, vcc_lo
	v_cmp_ne_u32_e32 vcc_lo, 0, v10
	v_lshrrev_b32_e32 v8, 2, v8
	v_cmp_lt_i32_e64 s1, 5, v16
	v_cmp_eq_u32_e64 s2, 3, v16
	v_cndmask_b32_e64 v10, 0, 1, vcc_lo
	v_cmp_lt_i32_e32 vcc_lo, 5, v15
	v_lshl_or_b32 v6, v6, 9, 0x7c00
	v_lshl_or_b32 v10, v10, 9, 0x7c00
	s_or_b32 vcc_lo, s0, vcc_lo
	v_add_co_ci_u32_e32 v13, vcc_lo, 0, v13, vcc_lo
	s_or_b32 vcc_lo, s2, s1
	v_add_co_ci_u32_e32 v8, vcc_lo, 0, v8, vcc_lo
	v_cmp_gt_i32_e32 vcc_lo, 31, v12
	v_cndmask_b32_e32 v13, 0x7c00, v13, vcc_lo
	v_cmp_gt_i32_e32 vcc_lo, 31, v14
	v_cndmask_b32_e32 v8, 0x7c00, v8, vcc_lo
	v_cmp_eq_u32_e32 vcc_lo, 0x40f, v12
	v_cndmask_b32_e32 v6, v13, v6, vcc_lo
	v_cmp_eq_u32_e32 vcc_lo, 0x40f, v14
	v_and_or_b32 v6, 0x8000, v9, v6
	v_cndmask_b32_e32 v8, v8, v10, vcc_lo
	v_add_co_u32 v4, vcc_lo, v4, s6
	v_add_co_ci_u32_e32 v5, vcc_lo, s7, v5, vcc_lo
	v_and_or_b32 v8, 0x8000, v11, v8
	v_and_b32_e32 v6, 0xffff, v6
	v_lshl_or_b32 v6, v8, 16, v6
	v_lshrrev_b32_e32 v8, 16, v7
	global_store_dword v[4:5], v6, off
	global_load_dword v6, v[2:3], off offset:836
	s_waitcnt vmcnt(0)
	v_mul_f16_sdwa v9, v8, v6 dst_sel:DWORD dst_unused:UNUSED_PAD src0_sel:DWORD src1_sel:WORD_1
	v_mul_f16_sdwa v10, v7, v6 dst_sel:DWORD dst_unused:UNUSED_PAD src0_sel:DWORD src1_sel:WORD_1
	v_fmac_f16_e32 v9, v7, v6
	v_fma_f16 v6, v6, v8, -v10
	v_cvt_f32_f16_e32 v7, v9
	v_cvt_f32_f16_e32 v8, v6
	v_cvt_f64_f32_e32 v[6:7], v7
	v_cvt_f64_f32_e32 v[8:9], v8
	v_mul_f64 v[6:7], v[6:7], s[4:5]
	v_mul_f64 v[8:9], v[8:9], s[4:5]
	v_and_or_b32 v6, 0x1ff, v7, v6
	v_and_or_b32 v8, 0x1ff, v9, v8
	v_lshrrev_b32_e32 v10, 8, v7
	v_bfe_u32 v11, v7, 20, 11
	v_lshrrev_b32_e32 v12, 8, v9
	v_cmp_ne_u32_e32 vcc_lo, 0, v6
	v_bfe_u32 v13, v9, 20, 11
	v_lshrrev_b32_e32 v7, 16, v7
	v_sub_nc_u32_e32 v14, 0x3f1, v11
	v_add_nc_u32_e32 v11, 0xfffffc10, v11
	v_cndmask_b32_e64 v6, 0, 1, vcc_lo
	v_cmp_ne_u32_e32 vcc_lo, 0, v8
	v_lshrrev_b32_e32 v9, 16, v9
	v_and_or_b32 v6, 0xffe, v10, v6
	v_cndmask_b32_e64 v8, 0, 1, vcc_lo
	v_sub_nc_u32_e32 v10, 0x3f1, v13
	v_add_nc_u32_e32 v13, 0xfffffc10, v13
	v_and_or_b32 v8, 0xffe, v12, v8
	v_med3_i32 v12, v14, 0, 13
	v_or_b32_e32 v14, 0x1000, v6
	v_med3_i32 v10, v10, 0, 13
	v_or_b32_e32 v15, 0x1000, v8
	v_lshrrev_b32_e32 v16, v12, v14
	v_lshrrev_b32_e32 v17, v10, v15
	v_lshlrev_b32_e32 v12, v12, v16
	v_lshlrev_b32_e32 v10, v10, v17
	v_cmp_ne_u32_e32 vcc_lo, v12, v14
	v_lshl_or_b32 v14, v11, 12, v6
	v_cndmask_b32_e64 v12, 0, 1, vcc_lo
	v_cmp_ne_u32_e32 vcc_lo, v10, v15
	v_lshl_or_b32 v15, v13, 12, v8
	v_or_b32_e32 v12, v16, v12
	v_cndmask_b32_e64 v10, 0, 1, vcc_lo
	v_cmp_gt_i32_e32 vcc_lo, 1, v11
	v_or_b32_e32 v10, v17, v10
	v_cndmask_b32_e32 v12, v14, v12, vcc_lo
	v_cmp_gt_i32_e32 vcc_lo, 1, v13
	v_and_b32_e32 v14, 7, v12
	v_cndmask_b32_e32 v10, v15, v10, vcc_lo
	v_cmp_ne_u32_e32 vcc_lo, 0, v6
	v_lshrrev_b32_e32 v12, 2, v12
	v_cmp_eq_u32_e64 s0, 3, v14
	v_and_b32_e32 v15, 7, v10
	v_cndmask_b32_e64 v6, 0, 1, vcc_lo
	v_cmp_ne_u32_e32 vcc_lo, 0, v8
	v_lshrrev_b32_e32 v10, 2, v10
	v_cmp_lt_i32_e64 s1, 5, v15
	v_cmp_eq_u32_e64 s2, 3, v15
	v_cndmask_b32_e64 v8, 0, 1, vcc_lo
	v_cmp_lt_i32_e32 vcc_lo, 5, v14
	v_lshl_or_b32 v6, v6, 9, 0x7c00
	v_lshl_or_b32 v8, v8, 9, 0x7c00
	s_or_b32 vcc_lo, s0, vcc_lo
	v_add_co_ci_u32_e32 v12, vcc_lo, 0, v12, vcc_lo
	s_or_b32 vcc_lo, s2, s1
	v_add_co_ci_u32_e32 v10, vcc_lo, 0, v10, vcc_lo
	v_cmp_gt_i32_e32 vcc_lo, 31, v11
	v_cndmask_b32_e32 v12, 0x7c00, v12, vcc_lo
	v_cmp_gt_i32_e32 vcc_lo, 31, v13
	v_cndmask_b32_e32 v10, 0x7c00, v10, vcc_lo
	v_cmp_eq_u32_e32 vcc_lo, 0x40f, v11
	v_cndmask_b32_e32 v6, v12, v6, vcc_lo
	v_cmp_eq_u32_e32 vcc_lo, 0x40f, v13
	v_and_or_b32 v6, 0x8000, v7, v6
	v_cndmask_b32_e32 v8, v10, v8, vcc_lo
	v_add_co_u32 v4, vcc_lo, v4, s6
	v_add_co_ci_u32_e32 v5, vcc_lo, s7, v5, vcc_lo
	v_and_or_b32 v7, 0x8000, v9, v8
	v_and_b32_e32 v6, 0xffff, v6
	v_lshl_or_b32 v6, v7, 16, v6
	global_store_dword v[4:5], v6, off
	global_load_dword v6, v[2:3], off offset:1484
	v_add_nc_u32_e32 v2, 0x1500, v69
	ds_read2_b32 v[2:3], v2 offset0:51 offset1:213
	s_waitcnt lgkmcnt(0)
	v_lshrrev_b32_e32 v7, 16, v2
	s_waitcnt vmcnt(0)
	v_mul_f16_sdwa v8, v7, v6 dst_sel:DWORD dst_unused:UNUSED_PAD src0_sel:DWORD src1_sel:WORD_1
	v_mul_f16_sdwa v9, v2, v6 dst_sel:DWORD dst_unused:UNUSED_PAD src0_sel:DWORD src1_sel:WORD_1
	v_fmac_f16_e32 v8, v2, v6
	v_fma_f16 v2, v6, v7, -v9
	v_cvt_f32_f16_e32 v6, v8
	v_cvt_f32_f16_e32 v2, v2
	v_cvt_f64_f32_e32 v[6:7], v6
	v_cvt_f64_f32_e32 v[8:9], v2
	v_mul_f64 v[6:7], v[6:7], s[4:5]
	v_mul_f64 v[8:9], v[8:9], s[4:5]
	v_and_or_b32 v2, 0x1ff, v7, v6
	v_and_or_b32 v8, 0x1ff, v9, v8
	v_lshrrev_b32_e32 v6, 8, v7
	v_bfe_u32 v10, v7, 20, 11
	v_lshrrev_b32_e32 v11, 8, v9
	v_cmp_ne_u32_e32 vcc_lo, 0, v2
	v_bfe_u32 v12, v9, 20, 11
	v_lshrrev_b32_e32 v7, 16, v7
	v_sub_nc_u32_e32 v13, 0x3f1, v10
	v_add_nc_u32_e32 v10, 0xfffffc10, v10
	v_cndmask_b32_e64 v2, 0, 1, vcc_lo
	v_cmp_ne_u32_e32 vcc_lo, 0, v8
	v_lshrrev_b32_e32 v9, 16, v9
	v_and_or_b32 v2, 0xffe, v6, v2
	v_cndmask_b32_e64 v8, 0, 1, vcc_lo
	v_sub_nc_u32_e32 v6, 0x3f1, v12
	v_add_nc_u32_e32 v12, 0xfffffc10, v12
	v_and_or_b32 v8, 0xffe, v11, v8
	v_med3_i32 v11, v13, 0, 13
	v_or_b32_e32 v13, 0x1000, v2
	v_med3_i32 v6, v6, 0, 13
	v_or_b32_e32 v14, 0x1000, v8
	v_lshrrev_b32_e32 v15, v11, v13
	v_lshrrev_b32_e32 v16, v6, v14
	v_lshlrev_b32_e32 v11, v11, v15
	v_lshlrev_b32_e32 v6, v6, v16
	v_cmp_ne_u32_e32 vcc_lo, v11, v13
	v_lshl_or_b32 v13, v10, 12, v2
	v_cndmask_b32_e64 v11, 0, 1, vcc_lo
	v_cmp_ne_u32_e32 vcc_lo, v6, v14
	v_lshl_or_b32 v14, v12, 12, v8
	v_or_b32_e32 v11, v15, v11
	v_cndmask_b32_e64 v6, 0, 1, vcc_lo
	v_cmp_gt_i32_e32 vcc_lo, 1, v10
	v_or_b32_e32 v6, v16, v6
	v_cndmask_b32_e32 v11, v13, v11, vcc_lo
	v_cmp_gt_i32_e32 vcc_lo, 1, v12
	v_and_b32_e32 v13, 7, v11
	v_cndmask_b32_e32 v6, v14, v6, vcc_lo
	v_cmp_ne_u32_e32 vcc_lo, 0, v2
	v_lshrrev_b32_e32 v11, 2, v11
	v_cmp_eq_u32_e64 s0, 3, v13
	v_and_b32_e32 v14, 7, v6
	v_cndmask_b32_e64 v2, 0, 1, vcc_lo
	v_cmp_ne_u32_e32 vcc_lo, 0, v8
	v_lshrrev_b32_e32 v6, 2, v6
	v_cmp_lt_i32_e64 s1, 5, v14
	v_cmp_eq_u32_e64 s2, 3, v14
	v_cndmask_b32_e64 v8, 0, 1, vcc_lo
	v_cmp_lt_i32_e32 vcc_lo, 5, v13
	v_lshl_or_b32 v2, v2, 9, 0x7c00
	v_lshl_or_b32 v8, v8, 9, 0x7c00
	s_or_b32 vcc_lo, s0, vcc_lo
	v_add_co_ci_u32_e32 v11, vcc_lo, 0, v11, vcc_lo
	s_or_b32 vcc_lo, s2, s1
	v_add_co_ci_u32_e32 v6, vcc_lo, 0, v6, vcc_lo
	v_cmp_gt_i32_e32 vcc_lo, 31, v10
	v_cndmask_b32_e32 v11, 0x7c00, v11, vcc_lo
	v_cmp_gt_i32_e32 vcc_lo, 31, v12
	v_cndmask_b32_e32 v6, 0x7c00, v6, vcc_lo
	v_cmp_eq_u32_e32 vcc_lo, 0x40f, v10
	v_cndmask_b32_e32 v2, v11, v2, vcc_lo
	v_cmp_eq_u32_e32 vcc_lo, 0x40f, v12
	v_and_or_b32 v2, 0x8000, v7, v2
	v_cndmask_b32_e32 v6, v6, v8, vcc_lo
	v_add_co_u32 v4, vcc_lo, v4, s6
	v_add_co_ci_u32_e32 v5, vcc_lo, s7, v5, vcc_lo
	v_and_or_b32 v6, 0x8000, v9, v6
	v_and_b32_e32 v2, 0xffff, v2
	v_lshl_or_b32 v2, v6, 16, v2
	v_lshrrev_b32_e32 v6, 16, v3
	global_store_dword v[4:5], v2, off
	global_load_dword v2, v[0:1], off offset:84
	s_waitcnt vmcnt(0)
	v_mul_f16_sdwa v7, v6, v2 dst_sel:DWORD dst_unused:UNUSED_PAD src0_sel:DWORD src1_sel:WORD_1
	v_mul_f16_sdwa v8, v3, v2 dst_sel:DWORD dst_unused:UNUSED_PAD src0_sel:DWORD src1_sel:WORD_1
	v_fmac_f16_e32 v7, v3, v2
	v_fma_f16 v2, v2, v6, -v8
	v_cvt_f32_f16_e32 v3, v7
	v_cvt_f32_f16_e32 v6, v2
	v_cvt_f64_f32_e32 v[2:3], v3
	v_cvt_f64_f32_e32 v[6:7], v6
	v_mul_f64 v[2:3], v[2:3], s[4:5]
	v_mul_f64 v[6:7], v[6:7], s[4:5]
	v_and_or_b32 v2, 0x1ff, v3, v2
	v_and_or_b32 v6, 0x1ff, v7, v6
	v_lshrrev_b32_e32 v8, 8, v3
	v_bfe_u32 v9, v3, 20, 11
	v_lshrrev_b32_e32 v10, 8, v7
	v_cmp_ne_u32_e32 vcc_lo, 0, v2
	v_bfe_u32 v11, v7, 20, 11
	v_lshrrev_b32_e32 v3, 16, v3
	v_sub_nc_u32_e32 v12, 0x3f1, v9
	v_add_nc_u32_e32 v9, 0xfffffc10, v9
	v_cndmask_b32_e64 v2, 0, 1, vcc_lo
	v_cmp_ne_u32_e32 vcc_lo, 0, v6
	v_lshrrev_b32_e32 v7, 16, v7
	v_and_or_b32 v2, 0xffe, v8, v2
	v_cndmask_b32_e64 v6, 0, 1, vcc_lo
	v_sub_nc_u32_e32 v8, 0x3f1, v11
	v_add_nc_u32_e32 v11, 0xfffffc10, v11
	v_and_or_b32 v6, 0xffe, v10, v6
	v_med3_i32 v10, v12, 0, 13
	v_or_b32_e32 v12, 0x1000, v2
	v_med3_i32 v8, v8, 0, 13
	v_or_b32_e32 v13, 0x1000, v6
	v_lshrrev_b32_e32 v14, v10, v12
	v_lshrrev_b32_e32 v15, v8, v13
	v_lshlrev_b32_e32 v10, v10, v14
	v_lshlrev_b32_e32 v8, v8, v15
	v_cmp_ne_u32_e32 vcc_lo, v10, v12
	v_lshl_or_b32 v12, v9, 12, v2
	v_cndmask_b32_e64 v10, 0, 1, vcc_lo
	v_cmp_ne_u32_e32 vcc_lo, v8, v13
	v_lshl_or_b32 v13, v11, 12, v6
	v_or_b32_e32 v10, v14, v10
	v_cndmask_b32_e64 v8, 0, 1, vcc_lo
	v_cmp_gt_i32_e32 vcc_lo, 1, v9
	v_or_b32_e32 v8, v15, v8
	v_cndmask_b32_e32 v10, v12, v10, vcc_lo
	v_cmp_gt_i32_e32 vcc_lo, 1, v11
	v_and_b32_e32 v12, 7, v10
	v_cndmask_b32_e32 v8, v13, v8, vcc_lo
	v_cmp_ne_u32_e32 vcc_lo, 0, v2
	v_lshrrev_b32_e32 v10, 2, v10
	v_cmp_eq_u32_e64 s0, 3, v12
	v_and_b32_e32 v13, 7, v8
	v_cndmask_b32_e64 v2, 0, 1, vcc_lo
	v_cmp_ne_u32_e32 vcc_lo, 0, v6
	v_lshrrev_b32_e32 v8, 2, v8
	v_cmp_lt_i32_e64 s1, 5, v13
	v_cmp_eq_u32_e64 s2, 3, v13
	v_cndmask_b32_e64 v6, 0, 1, vcc_lo
	v_cmp_lt_i32_e32 vcc_lo, 5, v12
	v_lshl_or_b32 v2, v2, 9, 0x7c00
	v_lshl_or_b32 v6, v6, 9, 0x7c00
	s_or_b32 vcc_lo, s0, vcc_lo
	v_add_co_ci_u32_e32 v10, vcc_lo, 0, v10, vcc_lo
	s_or_b32 vcc_lo, s2, s1
	v_add_co_ci_u32_e32 v8, vcc_lo, 0, v8, vcc_lo
	v_cmp_gt_i32_e32 vcc_lo, 31, v9
	v_cndmask_b32_e32 v10, 0x7c00, v10, vcc_lo
	v_cmp_gt_i32_e32 vcc_lo, 31, v11
	v_cndmask_b32_e32 v8, 0x7c00, v8, vcc_lo
	v_cmp_eq_u32_e32 vcc_lo, 0x40f, v9
	v_cndmask_b32_e32 v2, v10, v2, vcc_lo
	v_cmp_eq_u32_e32 vcc_lo, 0x40f, v11
	v_and_or_b32 v2, 0x8000, v3, v2
	v_cndmask_b32_e32 v6, v8, v6, vcc_lo
	v_and_or_b32 v6, 0x8000, v7, v6
	v_and_b32_e32 v7, 0xffff, v2
	v_add_co_u32 v2, vcc_lo, v4, s6
	v_add_co_ci_u32_e32 v3, vcc_lo, s7, v5, vcc_lo
	v_lshl_or_b32 v4, v6, 16, v7
	global_store_dword v[2:3], v4, off
	global_load_dword v0, v[0:1], off offset:732
	ds_read_b32 v1, v69 offset:6876
	s_waitcnt lgkmcnt(0)
	v_lshrrev_b32_e32 v4, 16, v1
	s_waitcnt vmcnt(0)
	v_mul_f16_sdwa v5, v4, v0 dst_sel:DWORD dst_unused:UNUSED_PAD src0_sel:DWORD src1_sel:WORD_1
	v_mul_f16_sdwa v6, v1, v0 dst_sel:DWORD dst_unused:UNUSED_PAD src0_sel:DWORD src1_sel:WORD_1
	v_fmac_f16_e32 v5, v1, v0
	v_fma_f16 v0, v0, v4, -v6
	v_cvt_f32_f16_e32 v1, v5
	v_cvt_f32_f16_e32 v4, v0
	v_cvt_f64_f32_e32 v[0:1], v1
	v_cvt_f64_f32_e32 v[4:5], v4
	v_mul_f64 v[0:1], v[0:1], s[4:5]
	v_mul_f64 v[4:5], v[4:5], s[4:5]
	v_and_or_b32 v0, 0x1ff, v1, v0
	v_and_or_b32 v4, 0x1ff, v5, v4
	v_lshrrev_b32_e32 v6, 8, v1
	v_bfe_u32 v7, v1, 20, 11
	v_lshrrev_b32_e32 v8, 8, v5
	v_cmp_ne_u32_e32 vcc_lo, 0, v0
	v_bfe_u32 v9, v5, 20, 11
	v_lshrrev_b32_e32 v1, 16, v1
	v_sub_nc_u32_e32 v10, 0x3f1, v7
	v_add_nc_u32_e32 v7, 0xfffffc10, v7
	v_cndmask_b32_e64 v0, 0, 1, vcc_lo
	v_cmp_ne_u32_e32 vcc_lo, 0, v4
	v_lshrrev_b32_e32 v5, 16, v5
	v_and_or_b32 v0, 0xffe, v6, v0
	v_cndmask_b32_e64 v4, 0, 1, vcc_lo
	v_sub_nc_u32_e32 v6, 0x3f1, v9
	v_add_nc_u32_e32 v9, 0xfffffc10, v9
	v_and_or_b32 v4, 0xffe, v8, v4
	v_med3_i32 v8, v10, 0, 13
	v_or_b32_e32 v10, 0x1000, v0
	v_med3_i32 v6, v6, 0, 13
	v_or_b32_e32 v11, 0x1000, v4
	v_lshrrev_b32_e32 v12, v8, v10
	v_lshrrev_b32_e32 v13, v6, v11
	v_lshlrev_b32_e32 v8, v8, v12
	v_lshlrev_b32_e32 v6, v6, v13
	v_cmp_ne_u32_e32 vcc_lo, v8, v10
	v_lshl_or_b32 v10, v7, 12, v0
	v_cndmask_b32_e64 v8, 0, 1, vcc_lo
	v_cmp_ne_u32_e32 vcc_lo, v6, v11
	v_lshl_or_b32 v11, v9, 12, v4
	v_or_b32_e32 v8, v12, v8
	v_cndmask_b32_e64 v6, 0, 1, vcc_lo
	v_cmp_gt_i32_e32 vcc_lo, 1, v7
	v_or_b32_e32 v6, v13, v6
	v_cndmask_b32_e32 v8, v10, v8, vcc_lo
	v_cmp_gt_i32_e32 vcc_lo, 1, v9
	v_and_b32_e32 v10, 7, v8
	v_cndmask_b32_e32 v6, v11, v6, vcc_lo
	v_cmp_ne_u32_e32 vcc_lo, 0, v0
	v_lshrrev_b32_e32 v8, 2, v8
	v_cmp_eq_u32_e64 s0, 3, v10
	v_and_b32_e32 v11, 7, v6
	v_cndmask_b32_e64 v0, 0, 1, vcc_lo
	v_cmp_ne_u32_e32 vcc_lo, 0, v4
	v_lshrrev_b32_e32 v6, 2, v6
	v_cmp_lt_i32_e64 s1, 5, v11
	v_cmp_eq_u32_e64 s2, 3, v11
	v_cndmask_b32_e64 v4, 0, 1, vcc_lo
	v_cmp_lt_i32_e32 vcc_lo, 5, v10
	v_lshl_or_b32 v0, v0, 9, 0x7c00
	v_lshl_or_b32 v4, v4, 9, 0x7c00
	s_or_b32 vcc_lo, s0, vcc_lo
	v_add_co_ci_u32_e32 v8, vcc_lo, 0, v8, vcc_lo
	s_or_b32 vcc_lo, s2, s1
	v_add_co_ci_u32_e32 v6, vcc_lo, 0, v6, vcc_lo
	v_cmp_gt_i32_e32 vcc_lo, 31, v7
	v_cndmask_b32_e32 v8, 0x7c00, v8, vcc_lo
	v_cmp_gt_i32_e32 vcc_lo, 31, v9
	v_cndmask_b32_e32 v6, 0x7c00, v6, vcc_lo
	v_cmp_eq_u32_e32 vcc_lo, 0x40f, v7
	v_cndmask_b32_e32 v0, v8, v0, vcc_lo
	v_cmp_eq_u32_e32 vcc_lo, 0x40f, v9
	v_and_or_b32 v0, 0x8000, v1, v0
	v_cndmask_b32_e32 v4, v6, v4, vcc_lo
	v_and_b32_e32 v0, 0xffff, v0
	v_and_or_b32 v1, 0x8000, v5, v4
	v_lshl_or_b32 v4, v1, 16, v0
	v_add_co_u32 v0, vcc_lo, v2, s6
	v_add_co_ci_u32_e32 v1, vcc_lo, s7, v3, vcc_lo
	global_store_dword v[0:1], v4, off
.LBB0_15:
	s_endpgm
	.section	.rodata,"a",@progbits
	.p2align	6, 0x0
	.amdhsa_kernel bluestein_single_fwd_len1782_dim1_half_op_CI_CI
		.amdhsa_group_segment_fixed_size 7128
		.amdhsa_private_segment_fixed_size 0
		.amdhsa_kernarg_size 104
		.amdhsa_user_sgpr_count 6
		.amdhsa_user_sgpr_private_segment_buffer 1
		.amdhsa_user_sgpr_dispatch_ptr 0
		.amdhsa_user_sgpr_queue_ptr 0
		.amdhsa_user_sgpr_kernarg_segment_ptr 1
		.amdhsa_user_sgpr_dispatch_id 0
		.amdhsa_user_sgpr_flat_scratch_init 0
		.amdhsa_user_sgpr_private_segment_size 0
		.amdhsa_wavefront_size32 1
		.amdhsa_uses_dynamic_stack 0
		.amdhsa_system_sgpr_private_segment_wavefront_offset 0
		.amdhsa_system_sgpr_workgroup_id_x 1
		.amdhsa_system_sgpr_workgroup_id_y 0
		.amdhsa_system_sgpr_workgroup_id_z 0
		.amdhsa_system_sgpr_workgroup_info 0
		.amdhsa_system_vgpr_workitem_id 0
		.amdhsa_next_free_vgpr 174
		.amdhsa_next_free_sgpr 16
		.amdhsa_reserve_vcc 1
		.amdhsa_reserve_flat_scratch 0
		.amdhsa_float_round_mode_32 0
		.amdhsa_float_round_mode_16_64 0
		.amdhsa_float_denorm_mode_32 3
		.amdhsa_float_denorm_mode_16_64 3
		.amdhsa_dx10_clamp 1
		.amdhsa_ieee_mode 1
		.amdhsa_fp16_overflow 0
		.amdhsa_workgroup_processor_mode 1
		.amdhsa_memory_ordered 1
		.amdhsa_forward_progress 0
		.amdhsa_shared_vgpr_count 0
		.amdhsa_exception_fp_ieee_invalid_op 0
		.amdhsa_exception_fp_denorm_src 0
		.amdhsa_exception_fp_ieee_div_zero 0
		.amdhsa_exception_fp_ieee_overflow 0
		.amdhsa_exception_fp_ieee_underflow 0
		.amdhsa_exception_fp_ieee_inexact 0
		.amdhsa_exception_int_div_zero 0
	.end_amdhsa_kernel
	.text
.Lfunc_end0:
	.size	bluestein_single_fwd_len1782_dim1_half_op_CI_CI, .Lfunc_end0-bluestein_single_fwd_len1782_dim1_half_op_CI_CI
                                        ; -- End function
	.section	.AMDGPU.csdata,"",@progbits
; Kernel info:
; codeLenInByte = 39096
; NumSgprs: 18
; NumVgprs: 174
; ScratchSize: 0
; MemoryBound: 0
; FloatMode: 240
; IeeeMode: 1
; LDSByteSize: 7128 bytes/workgroup (compile time only)
; SGPRBlocks: 2
; VGPRBlocks: 21
; NumSGPRsForWavesPerEU: 18
; NumVGPRsForWavesPerEU: 174
; Occupancy: 5
; WaveLimiterHint : 1
; COMPUTE_PGM_RSRC2:SCRATCH_EN: 0
; COMPUTE_PGM_RSRC2:USER_SGPR: 6
; COMPUTE_PGM_RSRC2:TRAP_HANDLER: 0
; COMPUTE_PGM_RSRC2:TGID_X_EN: 1
; COMPUTE_PGM_RSRC2:TGID_Y_EN: 0
; COMPUTE_PGM_RSRC2:TGID_Z_EN: 0
; COMPUTE_PGM_RSRC2:TIDIG_COMP_CNT: 0
	.text
	.p2alignl 6, 3214868480
	.fill 48, 4, 3214868480
	.type	__hip_cuid_d7534cbc9f6518e5,@object ; @__hip_cuid_d7534cbc9f6518e5
	.section	.bss,"aw",@nobits
	.globl	__hip_cuid_d7534cbc9f6518e5
__hip_cuid_d7534cbc9f6518e5:
	.byte	0                               ; 0x0
	.size	__hip_cuid_d7534cbc9f6518e5, 1

	.ident	"AMD clang version 19.0.0git (https://github.com/RadeonOpenCompute/llvm-project roc-6.4.0 25133 c7fe45cf4b819c5991fe208aaa96edf142730f1d)"
	.section	".note.GNU-stack","",@progbits
	.addrsig
	.addrsig_sym __hip_cuid_d7534cbc9f6518e5
	.amdgpu_metadata
---
amdhsa.kernels:
  - .args:
      - .actual_access:  read_only
        .address_space:  global
        .offset:         0
        .size:           8
        .value_kind:     global_buffer
      - .actual_access:  read_only
        .address_space:  global
        .offset:         8
        .size:           8
        .value_kind:     global_buffer
      - .actual_access:  read_only
        .address_space:  global
        .offset:         16
        .size:           8
        .value_kind:     global_buffer
      - .actual_access:  read_only
        .address_space:  global
        .offset:         24
        .size:           8
        .value_kind:     global_buffer
      - .actual_access:  read_only
        .address_space:  global
        .offset:         32
        .size:           8
        .value_kind:     global_buffer
      - .offset:         40
        .size:           8
        .value_kind:     by_value
      - .address_space:  global
        .offset:         48
        .size:           8
        .value_kind:     global_buffer
      - .address_space:  global
        .offset:         56
        .size:           8
        .value_kind:     global_buffer
      - .address_space:  global
        .offset:         64
        .size:           8
        .value_kind:     global_buffer
      - .address_space:  global
        .offset:         72
        .size:           8
        .value_kind:     global_buffer
      - .offset:         80
        .size:           4
        .value_kind:     by_value
      - .address_space:  global
        .offset:         88
        .size:           8
        .value_kind:     global_buffer
      - .address_space:  global
        .offset:         96
        .size:           8
        .value_kind:     global_buffer
    .group_segment_fixed_size: 7128
    .kernarg_segment_align: 8
    .kernarg_segment_size: 104
    .language:       OpenCL C
    .language_version:
      - 2
      - 0
    .max_flat_workgroup_size: 99
    .name:           bluestein_single_fwd_len1782_dim1_half_op_CI_CI
    .private_segment_fixed_size: 0
    .sgpr_count:     18
    .sgpr_spill_count: 0
    .symbol:         bluestein_single_fwd_len1782_dim1_half_op_CI_CI.kd
    .uniform_work_group_size: 1
    .uses_dynamic_stack: false
    .vgpr_count:     174
    .vgpr_spill_count: 0
    .wavefront_size: 32
    .workgroup_processor_mode: 1
amdhsa.target:   amdgcn-amd-amdhsa--gfx1030
amdhsa.version:
  - 1
  - 2
...

	.end_amdgpu_metadata
